;; amdgpu-corpus repo=ROCm/rocFFT kind=compiled arch=gfx1201 opt=O3
	.text
	.amdgcn_target "amdgcn-amd-amdhsa--gfx1201"
	.amdhsa_code_object_version 6
	.protected	bluestein_single_fwd_len637_dim1_sp_op_CI_CI ; -- Begin function bluestein_single_fwd_len637_dim1_sp_op_CI_CI
	.globl	bluestein_single_fwd_len637_dim1_sp_op_CI_CI
	.p2align	8
	.type	bluestein_single_fwd_len637_dim1_sp_op_CI_CI,@function
bluestein_single_fwd_len637_dim1_sp_op_CI_CI: ; @bluestein_single_fwd_len637_dim1_sp_op_CI_CI
; %bb.0:
	s_load_b128 s[8:11], s[0:1], 0x28
	v_mul_u32_u24_e32 v1, 0x2d1, v0
	s_mov_b32 s2, exec_lo
	v_mov_b32_e32 v49, 0
	s_delay_alu instid0(VALU_DEP_2) | instskip(NEXT) | instid1(VALU_DEP_1)
	v_lshrrev_b32_e32 v1, 16, v1
	v_add_nc_u32_e32 v48, ttmp9, v1
	s_wait_kmcnt 0x0
	s_delay_alu instid0(VALU_DEP_1)
	v_cmpx_gt_u64_e64 s[8:9], v[48:49]
	s_cbranch_execz .LBB0_15
; %bb.1:
	s_clause 0x1
	s_load_b64 s[8:9], s[0:1], 0x0
	s_load_b64 s[12:13], s[0:1], 0x38
	v_mul_lo_u16 v1, 0x5b, v1
	s_delay_alu instid0(VALU_DEP_1) | instskip(NEXT) | instid1(VALU_DEP_1)
	v_sub_nc_u16 v0, v0, v1
	v_and_b32_e32 v58, 0xffff, v0
	v_cmp_gt_u16_e32 vcc_lo, 49, v0
	s_delay_alu instid0(VALU_DEP_2)
	v_lshlrev_b32_e32 v57, 3, v58
	s_and_saveexec_b32 s3, vcc_lo
	s_cbranch_execz .LBB0_3
; %bb.2:
	s_load_b64 s[4:5], s[0:1], 0x18
	s_delay_alu instid0(VALU_DEP_1)
	v_add_nc_u32_e32 v56, 0xc00, v57
	s_wait_kmcnt 0x0
	s_load_b128 s[4:7], s[4:5], 0x0
	s_wait_kmcnt 0x0
	v_mad_co_u64_u32 v[0:1], null, s6, v48, 0
	v_mad_co_u64_u32 v[2:3], null, s4, v58, 0
	s_delay_alu instid0(VALU_DEP_1) | instskip(NEXT) | instid1(VALU_DEP_1)
	v_mad_co_u64_u32 v[4:5], null, s7, v48, v[1:2]
	v_mad_co_u64_u32 v[5:6], null, s5, v58, v[3:4]
	v_mov_b32_e32 v1, v4
	s_mul_u64 s[4:5], s[4:5], 0x188
	s_delay_alu instid0(VALU_DEP_1) | instskip(NEXT) | instid1(VALU_DEP_3)
	v_lshlrev_b64_e32 v[0:1], 3, v[0:1]
	v_mov_b32_e32 v3, v5
	s_delay_alu instid0(VALU_DEP_2) | instskip(NEXT) | instid1(VALU_DEP_2)
	v_add_co_u32 v10, s2, s10, v0
	v_lshlrev_b64_e32 v[2:3], 3, v[2:3]
	s_delay_alu instid0(VALU_DEP_4)
	v_add_co_ci_u32_e64 v11, s2, s11, v1, s2
	s_clause 0xa
	global_load_b64 v[0:1], v57, s[8:9]
	global_load_b64 v[4:5], v57, s[8:9] offset:392
	global_load_b64 v[6:7], v57, s[8:9] offset:784
	;; [unrolled: 1-line block ×10, first 2 shown]
	v_add_co_u32 v2, s2, v10, v2
	s_wait_alu 0xf1ff
	v_add_co_ci_u32_e64 v3, s2, v11, v3, s2
	s_wait_alu 0xfffe
	s_delay_alu instid0(VALU_DEP_2) | instskip(SKIP_1) | instid1(VALU_DEP_2)
	v_add_co_u32 v10, s2, v2, s4
	s_wait_alu 0xf1ff
	v_add_co_ci_u32_e64 v11, s2, s5, v3, s2
	global_load_b64 v[2:3], v[2:3], off
	v_add_co_u32 v20, s2, v10, s4
	s_wait_alu 0xf1ff
	v_add_co_ci_u32_e64 v21, s2, s5, v11, s2
	s_delay_alu instid0(VALU_DEP_2) | instskip(SKIP_1) | instid1(VALU_DEP_2)
	v_add_co_u32 v28, s2, v20, s4
	s_wait_alu 0xf1ff
	v_add_co_ci_u32_e64 v29, s2, s5, v21, s2
	s_delay_alu instid0(VALU_DEP_2) | instskip(SKIP_1) | instid1(VALU_DEP_2)
	v_add_co_u32 v30, s2, v28, s4
	s_wait_alu 0xf1ff
	v_add_co_ci_u32_e64 v31, s2, s5, v29, s2
	s_clause 0x2
	global_load_b64 v[10:11], v[10:11], off
	global_load_b64 v[20:21], v[20:21], off
	;; [unrolled: 1-line block ×3, first 2 shown]
	v_add_co_u32 v32, s2, v30, s4
	s_wait_alu 0xf1ff
	v_add_co_ci_u32_e64 v33, s2, s5, v31, s2
	global_load_b64 v[30:31], v[30:31], off
	v_add_co_u32 v34, s2, v32, s4
	s_wait_alu 0xf1ff
	v_add_co_ci_u32_e64 v35, s2, s5, v33, s2
	global_load_b64 v[32:33], v[32:33], off
	;; [unrolled: 4-line block ×7, first 2 shown]
	v_add_co_u32 v46, s2, v44, s4
	s_wait_alu 0xf1ff
	v_add_co_ci_u32_e64 v47, s2, s5, v45, s2
	global_load_b64 v[49:50], v57, s[8:9] offset:4312
	global_load_b64 v[44:45], v[44:45], off
	global_load_b64 v[51:52], v57, s[8:9] offset:4704
	global_load_b64 v[46:47], v[46:47], off
	s_wait_loadcnt 0xe
	v_mul_f32_e32 v54, v2, v1
	v_mul_f32_e32 v53, v3, v1
	s_delay_alu instid0(VALU_DEP_2) | instskip(NEXT) | instid1(VALU_DEP_2)
	v_fma_f32 v54, v3, v0, -v54
	v_fmac_f32_e32 v53, v2, v0
	s_wait_loadcnt 0xd
	v_mul_f32_e32 v1, v11, v5
	s_wait_loadcnt 0xc
	v_dual_mul_f32 v0, v10, v5 :: v_dual_mul_f32 v3, v21, v7
	v_mul_f32_e32 v7, v20, v7
	s_wait_loadcnt 0xb
	v_mul_f32_e32 v5, v29, v9
	v_mul_f32_e32 v9, v28, v9
	v_fmac_f32_e32 v1, v10, v4
	v_fma_f32 v2, v11, v4, -v0
	v_fmac_f32_e32 v3, v20, v6
	v_fma_f32 v4, v21, v6, -v7
	;; [unrolled: 2-line block ×3, first 2 shown]
	s_wait_loadcnt 0xa
	v_mul_f32_e32 v0, v31, v13
	v_mul_f32_e32 v7, v30, v13
	ds_store_2addr_b64 v57, v[53:54], v[1:2] offset1:49
	s_wait_loadcnt 0x9
	v_dual_mul_f32 v2, v33, v15 :: v_dual_add_nc_u32 v55, 0x800, v57
	v_fmac_f32_e32 v0, v30, v12
	v_fma_f32 v1, v31, v12, -v7
	s_delay_alu instid0(VALU_DEP_3)
	v_fmac_f32_e32 v2, v32, v14
	s_wait_loadcnt 0x6
	v_mul_f32_e32 v8, v39, v23
	s_wait_loadcnt 0x5
	v_dual_mul_f32 v9, v38, v23 :: v_dual_mul_f32 v10, v41, v25
	ds_store_2addr_b64 v57, v[3:4], v[5:6] offset0:98 offset1:147
	v_dual_mul_f32 v3, v32, v15 :: v_dual_fmac_f32 v8, v38, v22
	v_mul_f32_e32 v4, v35, v17
	v_dual_mul_f32 v5, v34, v17 :: v_dual_fmac_f32 v10, v40, v24
	v_mul_f32_e32 v6, v37, v19
	s_wait_loadcnt 0x4
	v_mul_f32_e32 v12, v43, v27
	v_mul_f32_e32 v7, v36, v19
	v_mul_f32_e32 v11, v40, v25
	v_fma_f32 v3, v33, v14, -v3
	v_fmac_f32_e32 v4, v34, v16
	v_fma_f32 v5, v35, v16, -v5
	s_wait_loadcnt 0x0
	v_mul_f32_e32 v16, v47, v52
	v_dual_mul_f32 v14, v45, v50 :: v_dual_mul_f32 v13, v42, v27
	v_mul_f32_e32 v15, v44, v50
	v_mul_f32_e32 v17, v46, v52
	s_delay_alu instid0(VALU_DEP_4)
	v_fmac_f32_e32 v16, v46, v51
	v_fmac_f32_e32 v6, v36, v18
	v_fmac_f32_e32 v12, v42, v26
	v_fma_f32 v7, v37, v18, -v7
	v_fma_f32 v9, v39, v22, -v9
	v_fma_f32 v11, v41, v24, -v11
	v_fmac_f32_e32 v14, v44, v49
	v_fma_f32 v13, v43, v26, -v13
	v_fma_f32 v15, v45, v49, -v15
	v_fma_f32 v17, v47, v51, -v17
	ds_store_2addr_b64 v57, v[0:1], v[2:3] offset0:196 offset1:245
	ds_store_2addr_b64 v55, v[4:5], v[6:7] offset0:38 offset1:87
	;; [unrolled: 1-line block ×4, first 2 shown]
	ds_store_b64 v57, v[16:17] offset:4704
.LBB0_3:
	s_or_b32 exec_lo, exec_lo, s3
	s_clause 0x1
	s_load_b64 s[2:3], s[0:1], 0x20
	s_load_b64 s[4:5], s[0:1], 0x8
	v_mov_b32_e32 v12, 0
	v_mov_b32_e32 v13, 0
	global_wb scope:SCOPE_SE
	s_wait_dscnt 0x0
	s_wait_kmcnt 0x0
	s_barrier_signal -1
	s_barrier_wait -1
	global_inv scope:SCOPE_SE
                                        ; implicit-def: $vgpr26
                                        ; implicit-def: $vgpr20
                                        ; implicit-def: $vgpr16
                                        ; implicit-def: $vgpr8
                                        ; implicit-def: $vgpr30
                                        ; implicit-def: $vgpr34
	s_and_saveexec_b32 s0, vcc_lo
	s_cbranch_execz .LBB0_5
; %bb.4:
	v_add_nc_u32_e32 v0, 0x800, v57
	v_add_nc_u32_e32 v1, 0xc00, v57
	ds_load_2addr_b64 v[12:15], v57 offset1:49
	ds_load_2addr_b64 v[32:35], v57 offset0:98 offset1:147
	ds_load_2addr_b64 v[28:31], v57 offset0:196 offset1:245
	;; [unrolled: 1-line block ×5, first 2 shown]
	ds_load_b64 v[8:9], v57 offset:4704
.LBB0_5:
	s_wait_alu 0xfffe
	s_or_b32 exec_lo, exec_lo, s0
	s_wait_dscnt 0x0
	v_dual_sub_f32 v4, v15, v9 :: v_dual_sub_f32 v5, v14, v8
	v_add_f32_e32 v71, v8, v14
	v_dual_add_f32 v79, v9, v15 :: v_dual_sub_f32 v114, v28, v22
	v_add_f32_e32 v77, v22, v28
	s_delay_alu instid0(VALU_DEP_4) | instskip(SKIP_2) | instid1(VALU_DEP_3)
	v_mul_f32_e32 v36, 0xbeedf032, v4
	v_mul_f32_e32 v40, 0xbf52af12, v4
	v_dual_mul_f32 v52, 0xbf7e222b, v5 :: v_dual_add_f32 v73, v18, v32
	v_dual_sub_f32 v7, v33, v19 :: v_dual_fmamk_f32 v0, v71, 0x3f62ad3f, v36
	v_mul_f32_e32 v37, 0xbeedf032, v5
	s_delay_alu instid0(VALU_DEP_4) | instskip(NEXT) | instid1(VALU_DEP_3)
	v_fmamk_f32 v2, v71, 0x3f116cb1, v40
	v_dual_sub_f32 v10, v32, v18 :: v_dual_mul_f32 v45, 0xbf6f5d39, v7
	s_delay_alu instid0(VALU_DEP_4) | instskip(NEXT) | instid1(VALU_DEP_3)
	v_dual_mul_f32 v43, 0xbf52af12, v5 :: v_dual_add_f32 v0, v0, v12
	v_add_f32_e32 v2, v2, v12
	v_fma_f32 v1, 0x3f62ad3f, v79, -v37
	s_delay_alu instid0(VALU_DEP_4) | instskip(NEXT) | instid1(VALU_DEP_4)
	v_dual_add_f32 v74, v19, v33 :: v_dual_mul_f32 v39, 0xbf52af12, v10
	v_fma_f32 v3, 0x3f116cb1, v79, -v43
	s_delay_alu instid0(VALU_DEP_3) | instskip(SKIP_1) | instid1(VALU_DEP_4)
	v_dual_mul_f32 v44, 0xbf7e222b, v4 :: v_dual_add_f32 v1, v1, v13
	v_mul_f32_e32 v38, 0xbf52af12, v7
	v_fma_f32 v41, 0x3f116cb1, v74, -v39
	s_delay_alu instid0(VALU_DEP_4) | instskip(NEXT) | instid1(VALU_DEP_4)
	v_add_f32_e32 v3, v3, v13
	v_dual_fmamk_f32 v6, v71, 0x3df6dbef, v44 :: v_dual_sub_f32 v59, v34, v16
	s_delay_alu instid0(VALU_DEP_3) | instskip(NEXT) | instid1(VALU_DEP_2)
	v_dual_mul_f32 v60, 0xbe750f2a, v7 :: v_dual_add_f32 v1, v41, v1
	v_dual_mul_f32 v51, 0xbf6f5d39, v10 :: v_dual_add_f32 v6, v6, v12
	v_add_f32_e32 v78, v23, v29
	v_dual_sub_f32 v116, v31, v21 :: v_dual_add_f32 v81, v21, v31
	s_delay_alu instid0(VALU_DEP_3) | instskip(SKIP_3) | instid1(VALU_DEP_4)
	v_fma_f32 v46, 0xbeb58ec6, v74, -v51
	v_fmamk_f32 v42, v73, 0xbeb58ec6, v45
	v_fma_f32 v49, 0x3df6dbef, v79, -v52
	v_add_f32_e32 v75, v16, v34
	v_dual_add_f32 v82, v20, v30 :: v_dual_add_f32 v3, v46, v3
	s_delay_alu instid0(VALU_DEP_4) | instskip(SKIP_2) | instid1(VALU_DEP_3)
	v_dual_fmamk_f32 v11, v73, 0x3f116cb1, v38 :: v_dual_add_f32 v2, v42, v2
	v_fmamk_f32 v46, v73, 0xbf788fa5, v60
	v_dual_mul_f32 v42, 0xbf7e222b, v59 :: v_dual_add_f32 v49, v49, v13
	v_add_f32_e32 v0, v11, v0
	s_delay_alu instid0(VALU_DEP_3) | instskip(SKIP_3) | instid1(VALU_DEP_4)
	v_dual_sub_f32 v11, v35, v17 :: v_dual_add_f32 v6, v46, v6
	v_mul_f32_e32 v87, 0xbe750f2a, v10
	v_mul_f32_e32 v124, 0x3eedf032, v10
	v_dual_sub_f32 v126, v24, v26 :: v_dual_mul_f32 v99, 0xbf6f5d39, v5
	v_mul_f32_e32 v41, 0xbf7e222b, v11
	v_add_f32_e32 v76, v17, v35
	v_sub_f32_e32 v113, v29, v23
	v_sub_f32_e32 v122, v25, v27
	v_fma_f32 v80, 0xbf788fa5, v74, -v87
	v_fmamk_f32 v47, v75, 0x3df6dbef, v41
	v_mul_f32_e32 v53, 0xbe750f2a, v11
	v_fma_f32 v50, 0x3df6dbef, v76, -v42
	v_dual_mul_f32 v61, 0x3f29c268, v113 :: v_dual_mul_f32 v64, 0x3f29c268, v114
	s_delay_alu instid0(VALU_DEP_4) | instskip(NEXT) | instid1(VALU_DEP_4)
	v_add_f32_e32 v0, v47, v0
	v_fmamk_f32 v54, v75, 0xbf788fa5, v53
	v_mul_f32_e32 v55, 0xbe750f2a, v59
	v_mul_f32_e32 v47, 0xbf6f5d39, v114
	v_add_f32_e32 v1, v50, v1
	v_sub_f32_e32 v121, v30, v20
	v_add_f32_e32 v2, v54, v2
	v_fma_f32 v56, 0xbf788fa5, v76, -v55
	v_fma_f32 v63, 0xbf3f9e67, v78, -v64
	v_fma_f32 v120, 0x3f62ad3f, v74, -v124
	v_mul_f32_e32 v68, 0x3f7e222b, v121
	v_mul_f32_e32 v69, 0x3eedf032, v113
	v_add_f32_e32 v3, v56, v3
	v_fma_f32 v56, 0xbeb58ec6, v78, -v47
	v_mul_f32_e32 v66, 0x3f6f5d39, v11
	v_mul_f32_e32 v46, 0xbf6f5d39, v113
	v_fma_f32 v67, 0x3df6dbef, v81, -v68
	v_add_f32_e32 v3, v63, v3
	s_delay_alu instid0(VALU_DEP_4) | instskip(NEXT) | instid1(VALU_DEP_4)
	v_dual_add_f32 v1, v56, v1 :: v_dual_fmamk_f32 v50, v75, 0xbeb58ec6, v66
	v_fmamk_f32 v54, v77, 0xbeb58ec6, v46
	s_delay_alu instid0(VALU_DEP_3) | instskip(SKIP_1) | instid1(VALU_DEP_4)
	v_dual_mul_f32 v56, 0xbf29c268, v121 :: v_dual_add_f32 v3, v67, v3
	v_mul_f32_e32 v100, 0x3f29c268, v10
	v_add_f32_e32 v6, v50, v6
	v_fmamk_f32 v50, v77, 0x3f62ad3f, v69
	s_delay_alu instid0(VALU_DEP_4)
	v_fma_f32 v65, 0xbf3f9e67, v81, -v56
	v_add_f32_e32 v0, v54, v0
	v_mul_f32_e32 v54, 0xbf29c268, v116
	v_fmamk_f32 v62, v77, 0xbf3f9e67, v61
	v_dual_mul_f32 v70, 0xbf52af12, v116 :: v_dual_mul_f32 v107, 0xbf52af12, v11
	v_add_f32_e32 v1, v65, v1
	s_delay_alu instid0(VALU_DEP_4) | instskip(NEXT) | instid1(VALU_DEP_4)
	v_fmamk_f32 v63, v82, 0xbf3f9e67, v54
	v_dual_add_f32 v2, v62, v2 :: v_dual_add_f32 v85, v27, v25
	v_mul_f32_e32 v62, 0x3f7e222b, v116
	v_dual_mul_f32 v65, 0xbe750f2a, v126 :: v_dual_add_f32 v84, v26, v24
	v_dual_mul_f32 v67, 0x3eedf032, v122 :: v_dual_add_f32 v86, v80, v49
	v_mul_f32_e32 v80, 0xbf29c268, v122
	v_add_f32_e32 v6, v50, v6
	v_fma_f32 v97, 0xbf3f9e67, v74, -v100
	v_fmamk_f32 v50, v82, 0x3df6dbef, v62
	v_dual_add_f32 v0, v63, v0 :: v_dual_mul_f32 v63, 0xbe750f2a, v122
	v_mul_f32_e32 v88, 0x3f6f5d39, v59
	v_mul_f32_e32 v94, 0x3f29c268, v7
	s_delay_alu instid0(VALU_DEP_4) | instskip(SKIP_4) | instid1(VALU_DEP_4)
	v_add_f32_e32 v2, v50, v2
	v_fmamk_f32 v50, v82, 0x3f116cb1, v70
	v_dual_mul_f32 v72, 0x3eedf032, v126 :: v_dual_mul_f32 v101, 0x3eedf032, v59
	v_fma_f32 v92, 0xbeb58ec6, v76, -v88
	v_fma_f32 v83, 0xbf788fa5, v85, -v65
	v_dual_add_f32 v6, v50, v6 :: v_dual_fmamk_f32 v93, v73, 0xbf3f9e67, v94
	v_fmamk_f32 v50, v84, 0xbf788fa5, v63
	v_fma_f32 v98, 0x3f62ad3f, v76, -v101
	v_fma_f32 v91, 0x3f62ad3f, v85, -v72
	v_mul_f32_e32 v89, 0x3eedf032, v114
	s_delay_alu instid0(VALU_DEP_4)
	v_dual_fmamk_f32 v90, v84, 0x3f62ad3f, v67 :: v_dual_add_f32 v49, v50, v0
	v_add_f32_e32 v0, v92, v86
	v_fma_f32 v92, 0xbeb58ec6, v79, -v99
	v_add_f32_e32 v50, v83, v1
	v_fma_f32 v1, 0x3f62ad3f, v78, -v89
	v_dual_mul_f32 v86, 0xbf52af12, v121 :: v_dual_mul_f32 v109, 0xbf52af12, v59
	s_delay_alu instid0(VALU_DEP_4) | instskip(SKIP_2) | instid1(VALU_DEP_3)
	v_dual_add_f32 v96, v92, v13 :: v_dual_add_f32 v3, v91, v3
	v_mul_f32_e32 v91, 0xbf6f5d39, v4
	v_mul_f32_e32 v111, 0x3f7e222b, v10
	v_dual_add_f32 v2, v90, v2 :: v_dual_add_f32 v97, v97, v96
	v_dual_mul_f32 v96, 0xbf7e222b, v114 :: v_dual_add_f32 v1, v1, v0
	v_fma_f32 v90, 0x3f116cb1, v81, -v86
	v_dual_mul_f32 v110, 0xbf29c268, v5 :: v_dual_mul_f32 v125, 0xbf29c268, v59
	s_delay_alu instid0(VALU_DEP_4) | instskip(NEXT) | instid1(VALU_DEP_4)
	v_add_f32_e32 v98, v98, v97
	v_fma_f32 v103, 0x3df6dbef, v78, -v96
	s_delay_alu instid0(VALU_DEP_4) | instskip(SKIP_2) | instid1(VALU_DEP_4)
	v_dual_add_f32 v1, v90, v1 :: v_dual_mul_f32 v90, 0x3eedf032, v11
	v_mul_f32_e32 v97, 0x3e750f2a, v121
	v_fma_f32 v130, 0xbf3f9e67, v76, -v125
	v_dual_add_f32 v104, v103, v98 :: v_dual_mul_f32 v103, 0xbf29c268, v4
	v_fmamk_f32 v83, v84, 0xbf3f9e67, v80
	v_mul_f32_e32 v92, 0xbf7e222b, v113
	v_fma_f32 v105, 0xbf788fa5, v81, -v97
	v_mul_f32_e32 v123, 0xbe750f2a, v5
	v_fmamk_f32 v108, v75, 0x3f116cb1, v107
	v_add_f32_e32 v0, v83, v6
	v_fmamk_f32 v6, v71, 0xbeb58ec6, v91
	v_mul_f32_e32 v83, 0xbf29c268, v126
	v_fmamk_f32 v102, v77, 0x3df6dbef, v92
	v_dual_add_f32 v127, v105, v104 :: v_dual_mul_f32 v104, 0x3f7e222b, v7
	s_delay_alu instid0(VALU_DEP_4) | instskip(NEXT) | instid1(VALU_DEP_4)
	v_add_f32_e32 v6, v6, v12
	v_fma_f32 v95, 0xbf3f9e67, v85, -v83
	v_fma_f32 v115, 0x3df6dbef, v74, -v111
	v_mul_f32_e32 v98, 0x3f52af12, v126
	v_fmamk_f32 v106, v73, 0x3df6dbef, v104
	global_wb scope:SCOPE_SE
	v_add_f32_e32 v1, v95, v1
	v_mul_f32_e32 v95, 0x3f52af12, v122
	v_dual_add_f32 v6, v93, v6 :: v_dual_fmamk_f32 v93, v75, 0x3f62ad3f, v90
	s_barrier_signal -1
	s_barrier_wait -1
	s_delay_alu instid0(VALU_DEP_2) | instskip(SKIP_2) | instid1(VALU_DEP_1)
	v_fmamk_f32 v105, v84, 0x3f116cb1, v95
	global_inv scope:SCOPE_SE
	v_dual_add_f32 v6, v93, v6 :: v_dual_mul_f32 v93, 0x3e750f2a, v116
	v_add_f32_e32 v6, v102, v6
	s_delay_alu instid0(VALU_DEP_2) | instskip(NEXT) | instid1(VALU_DEP_1)
	v_fmamk_f32 v102, v82, 0xbf788fa5, v93
	v_add_f32_e32 v6, v102, v6
	v_fmamk_f32 v102, v71, 0xbf3f9e67, v103
	s_delay_alu instid0(VALU_DEP_2) | instskip(NEXT) | instid1(VALU_DEP_2)
	v_add_f32_e32 v6, v105, v6
	v_add_f32_e32 v102, v102, v12
	v_fma_f32 v105, 0xbf3f9e67, v79, -v110
	s_delay_alu instid0(VALU_DEP_2) | instskip(SKIP_1) | instid1(VALU_DEP_3)
	v_add_f32_e32 v102, v106, v102
	v_mul_f32_e32 v106, 0x3e750f2a, v113
	v_dual_add_f32 v112, v105, v13 :: v_dual_mul_f32 v105, 0x3eedf032, v116
	v_mul_f32_e32 v116, 0xbf6f5d39, v116
	s_delay_alu instid0(VALU_DEP_3) | instskip(NEXT) | instid1(VALU_DEP_3)
	v_dual_add_f32 v102, v108, v102 :: v_dual_fmamk_f32 v117, v77, 0xbf788fa5, v106
	v_add_f32_e32 v112, v115, v112
	v_fma_f32 v115, 0x3f116cb1, v76, -v109
	v_mul_f32_e32 v108, 0x3e750f2a, v114
	s_delay_alu instid0(VALU_DEP_4) | instskip(SKIP_1) | instid1(VALU_DEP_4)
	v_dual_fmamk_f32 v118, v82, 0x3f62ad3f, v105 :: v_dual_add_f32 v117, v117, v102
	v_mul_f32_e32 v102, 0xbf6f5d39, v122
	v_add_f32_e32 v112, v115, v112
	v_mul_f32_e32 v115, 0xbe750f2a, v4
	v_fma_f32 v119, 0xbf788fa5, v78, -v108
	v_dual_add_f32 v4, v118, v117 :: v_dual_mul_f32 v117, 0x3eedf032, v7
	v_fma_f32 v7, 0xbf788fa5, v79, -v123
	s_delay_alu instid0(VALU_DEP_4) | instskip(NEXT) | instid1(VALU_DEP_4)
	v_fmamk_f32 v118, v71, 0xbf788fa5, v115
	v_dual_add_f32 v129, v119, v112 :: v_dual_mul_f32 v112, 0x3eedf032, v121
	s_delay_alu instid0(VALU_DEP_4) | instskip(NEXT) | instid1(VALU_DEP_3)
	v_fmamk_f32 v119, v73, 0x3f62ad3f, v117
	v_dual_add_f32 v7, v7, v13 :: v_dual_add_f32 v10, v118, v12
	v_mul_f32_e32 v118, 0xbf29c268, v11
	s_delay_alu instid0(VALU_DEP_4) | instskip(SKIP_1) | instid1(VALU_DEP_4)
	v_fma_f32 v11, 0x3f62ad3f, v81, -v112
	v_mul_f32_e32 v121, 0xbf6f5d39, v121
	v_dual_add_f32 v7, v120, v7 :: v_dual_add_f32 v10, v119, v10
	s_delay_alu instid0(VALU_DEP_4) | instskip(SKIP_1) | instid1(VALU_DEP_3)
	v_fmamk_f32 v59, v75, 0xbf3f9e67, v118
	v_dual_mul_f32 v119, 0x3f52af12, v113 :: v_dual_mul_f32 v120, 0x3f52af12, v114
	v_add_f32_e32 v7, v130, v7
	v_add_f32_e32 v11, v11, v129
	s_delay_alu instid0(VALU_DEP_3) | instskip(NEXT) | instid1(VALU_DEP_4)
	v_dual_add_f32 v10, v59, v10 :: v_dual_fmamk_f32 v59, v77, 0x3f116cb1, v119
	v_fma_f32 v114, 0x3f116cb1, v78, -v120
	v_mul_f32_e32 v113, 0xbf6f5d39, v126
	v_fma_f32 v129, 0xbeb58ec6, v81, -v121
	v_fma_f32 v128, 0x3f116cb1, v85, -v98
	s_delay_alu instid0(VALU_DEP_4)
	v_dual_add_f32 v10, v59, v10 :: v_dual_add_f32 v7, v114, v7
	v_fmamk_f32 v59, v82, 0xbeb58ec6, v116
	v_mul_f32_e32 v114, 0x3f7e222b, v122
	v_mul_f32_e32 v122, 0x3f7e222b, v126
	v_fmamk_f32 v5, v84, 0xbeb58ec6, v102
	v_fma_f32 v126, 0xbeb58ec6, v85, -v113
	v_dual_add_f32 v10, v59, v10 :: v_dual_add_f32 v59, v129, v7
	v_fmamk_f32 v129, v84, 0x3df6dbef, v114
	v_fma_f32 v130, 0x3df6dbef, v85, -v122
	v_dual_add_f32 v7, v128, v127 :: v_dual_add_f32 v4, v5, v4
	s_delay_alu instid0(VALU_DEP_3) | instskip(NEXT) | instid1(VALU_DEP_3)
	v_dual_add_f32 v5, v126, v11 :: v_dual_add_f32 v10, v129, v10
	v_add_f32_e32 v11, v130, v59
	v_mul_lo_u16 v59, v58, 13
	s_and_saveexec_b32 s0, vcc_lo
	s_cbranch_execz .LBB0_7
; %bb.6:
	v_mul_f32_e32 v132, 0xbf788fa5, v79
	v_mul_f32_e32 v126, 0x3f62ad3f, v71
	;; [unrolled: 1-line block ×3, first 2 shown]
	v_dual_mul_f32 v128, 0x3f116cb1, v71 :: v_dual_mul_f32 v137, 0x3f116cb1, v74
	s_delay_alu instid0(VALU_DEP_4)
	v_dual_add_f32 v123, v123, v132 :: v_dual_mul_f32 v132, 0x3f62ad3f, v74
	v_mul_f32_e32 v130, 0x3df6dbef, v71
	v_mul_f32_e32 v131, 0x3df6dbef, v79
	v_dual_mul_f32 v133, 0xbeb58ec6, v71 :: v_dual_mul_f32 v138, 0xbeb58ec6, v73
	v_mul_f32_e32 v135, 0xbf3f9e67, v71
	v_dual_mul_f32 v71, 0xbf788fa5, v71 :: v_dual_mul_f32 v140, 0xbf788fa5, v73
	v_dual_add_f32 v123, v123, v13 :: v_dual_add_f32 v124, v124, v132
	v_mul_f32_e32 v132, 0xbf3f9e67, v76
	v_dual_mul_f32 v129, 0x3f116cb1, v79 :: v_dual_mul_f32 v136, 0x3f116cb1, v73
	v_dual_mul_f32 v134, 0xbeb58ec6, v79 :: v_dual_mul_f32 v139, 0xbeb58ec6, v74
	v_mul_f32_e32 v79, 0xbf3f9e67, v79
	s_delay_alu instid0(VALU_DEP_4) | instskip(SKIP_3) | instid1(VALU_DEP_4)
	v_dual_add_f32 v123, v124, v123 :: v_dual_add_f32 v124, v125, v132
	v_dual_mul_f32 v132, 0x3f62ad3f, v73 :: v_dual_sub_f32 v71, v71, v115
	v_mul_f32_e32 v115, 0x3f116cb1, v78
	v_mul_f32_e32 v125, 0xbf788fa5, v74
	v_dual_add_f32 v123, v124, v123 :: v_dual_mul_f32 v124, 0xbf3f9e67, v73
	s_delay_alu instid0(VALU_DEP_4)
	v_sub_f32_e32 v117, v132, v117
	v_add_f32_e32 v71, v71, v12
	v_add_f32_e32 v115, v120, v115
	v_mul_f32_e32 v120, 0xbf3f9e67, v75
	v_mul_f32_e32 v132, 0xbf3f9e67, v74
	v_dual_mul_f32 v73, 0x3df6dbef, v73 :: v_dual_mul_f32 v74, 0x3df6dbef, v74
	s_delay_alu instid0(VALU_DEP_3) | instskip(SKIP_1) | instid1(VALU_DEP_3)
	v_dual_add_f32 v71, v117, v71 :: v_dual_sub_f32 v118, v120, v118
	v_mul_f32_e32 v117, 0xbeb58ec6, v81
	v_dual_add_f32 v79, v110, v79 :: v_dual_add_f32 v74, v111, v74
	s_delay_alu instid0(VALU_DEP_3) | instskip(SKIP_3) | instid1(VALU_DEP_3)
	v_dual_mul_f32 v110, 0xbeb58ec6, v76 :: v_dual_add_f32 v71, v118, v71
	v_dual_mul_f32 v118, 0x3df6dbef, v85 :: v_dual_add_f32 v115, v115, v123
	v_mul_f32_e32 v123, 0x3f116cb1, v77
	v_mul_f32_e32 v111, 0x3f62ad3f, v76
	v_dual_add_f32 v79, v79, v13 :: v_dual_add_f32 v118, v122, v118
	v_mul_f32_e32 v122, 0xbeb58ec6, v82
	v_dual_mul_f32 v120, 0x3df6dbef, v75 :: v_dual_add_f32 v117, v121, v117
	v_sub_f32_e32 v119, v123, v119
	s_delay_alu instid0(VALU_DEP_3) | instskip(SKIP_1) | instid1(VALU_DEP_4)
	v_dual_mul_f32 v141, 0xbeb58ec6, v77 :: v_dual_sub_f32 v116, v122, v116
	v_mul_f32_e32 v122, 0x3f62ad3f, v75
	v_add_f32_e32 v115, v117, v115
	v_mul_f32_e32 v117, 0xbf788fa5, v76
	v_add_f32_e32 v71, v119, v71
	v_mul_f32_e32 v121, 0x3df6dbef, v76
	v_mul_f32_e32 v76, 0x3f116cb1, v76
	v_sub_f32_e32 v73, v73, v104
	v_add_f32_e32 v100, v100, v132
	v_add_f32_e32 v116, v116, v71
	s_delay_alu instid0(VALU_DEP_4)
	v_dual_add_f32 v71, v74, v79 :: v_dual_add_f32 v76, v109, v76
	v_mul_f32_e32 v109, 0xbf788fa5, v78
	v_mul_f32_e32 v119, 0xbeb58ec6, v75
	v_sub_f32_e32 v74, v135, v103
	v_mul_f32_e32 v123, 0xbf788fa5, v75
	v_add_f32_e32 v71, v76, v71
	v_add_f32_e32 v108, v108, v109
	v_mul_f32_e32 v76, 0x3f62ad3f, v77
	v_dual_add_f32 v74, v74, v12 :: v_dual_mul_f32 v135, 0x3df6dbef, v77
	v_mul_f32_e32 v79, 0xbeb58ec6, v78
	s_delay_alu instid0(VALU_DEP_4)
	v_dual_add_f32 v71, v108, v71 :: v_dual_mul_f32 v142, 0x3f116cb1, v82
	v_mul_f32_e32 v108, 0x3df6dbef, v84
	v_mul_f32_e32 v103, 0xbf3f9e67, v77
	v_mul_f32_e32 v77, 0xbf788fa5, v77
	v_mul_f32_e32 v75, 0x3f116cb1, v75
	v_dual_add_f32 v73, v73, v74 :: v_dual_mul_f32 v132, 0x3f62ad3f, v84
	v_mul_f32_e32 v104, 0xbf3f9e67, v78
	v_sub_f32_e32 v94, v124, v94
	s_delay_alu instid0(VALU_DEP_4) | instskip(SKIP_1) | instid1(VALU_DEP_2)
	v_dual_sub_f32 v74, v75, v107 :: v_dual_mul_f32 v75, 0x3f62ad3f, v81
	v_dual_add_f32 v52, v52, v131 :: v_dual_add_f32 v87, v87, v125
	v_dual_mul_f32 v124, 0x3f116cb1, v84 :: v_dual_add_f32 v73, v74, v73
	s_delay_alu instid0(VALU_DEP_3) | instskip(SKIP_2) | instid1(VALU_DEP_3)
	v_dual_add_f32 v75, v112, v75 :: v_dual_sub_f32 v74, v77, v106
	v_mul_f32_e32 v77, 0x3df6dbef, v82
	v_sub_f32_e32 v106, v108, v114
	v_dual_mul_f32 v108, 0x3f62ad3f, v82 :: v_dual_add_f32 v75, v75, v71
	s_delay_alu instid0(VALU_DEP_4)
	v_dual_add_f32 v71, v74, v73 :: v_dual_add_f32 v74, v99, v134
	v_mul_f32_e32 v109, 0x3f62ad3f, v78
	v_mul_f32_e32 v78, 0x3df6dbef, v78
	v_mul_f32_e32 v99, 0xbeb58ec6, v85
	v_dual_sub_f32 v73, v108, v105 :: v_dual_sub_f32 v90, v122, v90
	v_add_f32_e32 v74, v74, v13
	s_delay_alu instid0(VALU_DEP_3)
	v_dual_add_f32 v78, v96, v78 :: v_dual_add_f32 v99, v113, v99
	v_dual_add_f32 v52, v52, v13 :: v_dual_mul_f32 v107, 0xbf3f9e67, v82
	v_mul_f32_e32 v82, 0xbf788fa5, v82
	v_mul_f32_e32 v108, 0xbf788fa5, v84
	v_add_f32_e32 v100, v100, v74
	v_add_f32_e32 v74, v99, v75
	s_delay_alu instid0(VALU_DEP_4)
	v_dual_add_f32 v101, v101, v111 :: v_dual_sub_f32 v82, v82, v93
	v_mul_f32_e32 v111, 0xbf3f9e67, v84
	v_dual_mul_f32 v84, 0xbeb58ec6, v84 :: v_dual_add_f32 v73, v73, v71
	v_dual_add_f32 v52, v87, v52 :: v_dual_add_f32 v87, v88, v110
	v_dual_sub_f32 v91, v133, v91 :: v_dual_mul_f32 v112, 0xbf3f9e67, v81
	v_mul_f32_e32 v114, 0x3df6dbef, v81
	s_delay_alu instid0(VALU_DEP_4) | instskip(NEXT) | instid1(VALU_DEP_4)
	v_dual_mul_f32 v105, 0x3f116cb1, v81 :: v_dual_sub_f32 v84, v84, v102
	v_add_f32_e32 v52, v87, v52
	s_delay_alu instid0(VALU_DEP_4) | instskip(SKIP_4) | instid1(VALU_DEP_4)
	v_add_f32_e32 v75, v91, v12
	v_add_f32_e32 v91, v101, v100
	v_mul_f32_e32 v81, 0xbf788fa5, v81
	v_mul_f32_e32 v113, 0xbf788fa5, v85
	;; [unrolled: 1-line block ×3, first 2 shown]
	v_dual_mul_f32 v133, 0xbf3f9e67, v85 :: v_dual_add_f32 v78, v78, v91
	s_delay_alu instid0(VALU_DEP_4) | instskip(SKIP_1) | instid1(VALU_DEP_2)
	v_dual_add_f32 v81, v97, v81 :: v_dual_sub_f32 v66, v119, v66
	v_dual_sub_f32 v40, v128, v40 :: v_dual_add_f32 v43, v43, v129
	v_dual_sub_f32 v45, v138, v45 :: v_dual_add_f32 v78, v81, v78
	s_delay_alu instid0(VALU_DEP_2) | instskip(NEXT) | instid1(VALU_DEP_3)
	v_dual_mul_f32 v85, 0x3f116cb1, v85 :: v_dual_add_f32 v40, v40, v12
	v_add_f32_e32 v43, v43, v13
	v_dual_add_f32 v73, v84, v73 :: v_dual_sub_f32 v84, v130, v44
	s_delay_alu instid0(VALU_DEP_3) | instskip(SKIP_3) | instid1(VALU_DEP_4)
	v_dual_add_f32 v81, v98, v85 :: v_dual_add_f32 v40, v45, v40
	v_sub_f32_e32 v45, v123, v53
	v_add_f32_e32 v51, v51, v139
	v_add_f32_e32 v85, v89, v109
	;; [unrolled: 1-line block ×4, first 2 shown]
	v_dual_add_f32 v75, v94, v75 :: v_dual_sub_f32 v60, v140, v60
	v_dual_add_f32 v40, v45, v40 :: v_dual_add_f32 v43, v51, v43
	v_add_f32_e32 v14, v14, v12
	v_dual_add_f32 v71, v118, v115 :: v_dual_add_f32 v52, v85, v52
	s_delay_alu instid0(VALU_DEP_4) | instskip(SKIP_1) | instid1(VALU_DEP_4)
	v_dual_add_f32 v75, v90, v75 :: v_dual_sub_f32 v90, v135, v92
	v_add_f32_e32 v81, v84, v12
	v_add_f32_e32 v32, v32, v14
	s_delay_alu instid0(VALU_DEP_4) | instskip(SKIP_1) | instid1(VALU_DEP_3)
	v_add_f32_e32 v52, v78, v52
	v_add_f32_e32 v78, v83, v133
	v_dual_add_f32 v51, v55, v117 :: v_dual_add_f32 v32, v34, v32
	v_add_f32_e32 v34, v37, v127
	v_dual_add_f32 v75, v90, v75 :: v_dual_add_f32 v60, v60, v81
	s_delay_alu instid0(VALU_DEP_3) | instskip(NEXT) | instid1(VALU_DEP_2)
	v_dual_sub_f32 v45, v103, v61 :: v_dual_add_f32 v28, v28, v32
	v_dual_add_f32 v32, v39, v137 :: v_dual_add_f32 v75, v82, v75
	s_delay_alu instid0(VALU_DEP_3) | instskip(SKIP_1) | instid1(VALU_DEP_4)
	v_add_f32_e32 v60, v66, v60
	v_sub_f32_e32 v66, v76, v69
	v_dual_add_f32 v28, v30, v28 :: v_dual_add_f32 v15, v15, v13
	v_add_f32_e32 v40, v45, v40
	s_delay_alu instid0(VALU_DEP_3) | instskip(SKIP_1) | instid1(VALU_DEP_4)
	v_dual_sub_f32 v82, v124, v95 :: v_dual_add_f32 v55, v66, v60
	v_sub_f32_e32 v60, v142, v70
	v_add_f32_e32 v24, v24, v28
	v_dual_sub_f32 v28, v120, v41 :: v_dual_add_f32 v15, v33, v15
	s_delay_alu instid0(VALU_DEP_3) | instskip(SKIP_1) | instid1(VALU_DEP_3)
	v_dual_add_f32 v52, v78, v52 :: v_dual_add_f32 v53, v60, v55
	v_dual_sub_f32 v55, v111, v80 :: v_dual_add_f32 v60, v72, v134
	v_add_f32_e32 v15, v35, v15
	v_add_f32_e32 v43, v51, v43
	;; [unrolled: 1-line block ×3, first 2 shown]
	v_dual_add_f32 v24, v26, v24 :: v_dual_sub_f32 v33, v77, v62
	s_delay_alu instid0(VALU_DEP_4) | instskip(SKIP_1) | instid1(VALU_DEP_3)
	v_add_f32_e32 v15, v29, v15
	v_sub_f32_e32 v29, v126, v36
	v_dual_add_f32 v43, v51, v43 :: v_dual_add_f32 v20, v20, v24
	v_add_f32_e32 v24, v56, v112
	v_add_f32_e32 v33, v33, v40
	s_delay_alu instid0(VALU_DEP_4) | instskip(NEXT) | instid1(VALU_DEP_4)
	v_dual_add_f32 v12, v29, v12 :: v_dual_sub_f32 v29, v136, v38
	v_dual_add_f32 v51, v68, v114 :: v_dual_add_f32 v20, v22, v20
	v_add_f32_e32 v70, v106, v116
	s_delay_alu instid0(VALU_DEP_2) | instskip(NEXT) | instid1(VALU_DEP_3)
	v_dual_add_f32 v12, v29, v12 :: v_dual_add_f32 v43, v51, v43
	v_dual_add_f32 v16, v16, v20 :: v_dual_add_f32 v15, v31, v15
	s_delay_alu instid0(VALU_DEP_2) | instskip(SKIP_1) | instid1(VALU_DEP_3)
	v_dual_add_f32 v51, v55, v53 :: v_dual_add_f32 v12, v28, v12
	v_sub_f32_e32 v20, v108, v63
	v_dual_add_f32 v18, v18, v16 :: v_dual_add_f32 v15, v25, v15
	v_dual_add_f32 v25, v42, v121 :: v_dual_add_f32 v14, v60, v43
	s_delay_alu instid0(VALU_DEP_2) | instskip(NEXT) | instid1(VALU_DEP_3)
	v_dual_add_f32 v43, v82, v75 :: v_dual_add_f32 v8, v8, v18
	v_add_f32_e32 v15, v27, v15
	s_delay_alu instid0(VALU_DEP_1) | instskip(SKIP_2) | instid1(VALU_DEP_2)
	v_add_f32_e32 v15, v21, v15
	v_sub_f32_e32 v21, v141, v46
	v_sub_f32_e32 v35, v132, v67
	v_dual_add_f32 v15, v23, v15 :: v_dual_add_f32 v12, v21, v12
	v_sub_f32_e32 v21, v107, v54
	v_add_f32_e32 v13, v34, v13
	s_delay_alu instid0(VALU_DEP_3) | instskip(SKIP_1) | instid1(VALU_DEP_3)
	v_add_f32_e32 v15, v17, v15
	v_add_f32_e32 v17, v65, v113
	v_dual_add_f32 v12, v21, v12 :: v_dual_add_f32 v13, v32, v13
	v_and_b32_e32 v21, 0xffff, v59
	s_delay_alu instid0(VALU_DEP_4) | instskip(NEXT) | instid1(VALU_DEP_3)
	v_add_f32_e32 v19, v19, v15
	v_add_f32_e32 v15, v20, v12
	s_delay_alu instid0(VALU_DEP_4) | instskip(SKIP_1) | instid1(VALU_DEP_4)
	v_add_f32_e32 v13, v25, v13
	v_add_f32_e32 v25, v47, v79
	v_dual_add_f32 v9, v9, v19 :: v_dual_lshlrev_b32 v12, 3, v21
	s_delay_alu instid0(VALU_DEP_2) | instskip(NEXT) | instid1(VALU_DEP_1)
	v_add_f32_e32 v13, v25, v13
	v_add_f32_e32 v13, v24, v13
	s_delay_alu instid0(VALU_DEP_1)
	v_add_f32_e32 v16, v17, v13
	v_add_f32_e32 v13, v35, v33
	ds_store_2addr_b64 v12, v[8:9], v[15:16] offset1:1
	ds_store_2addr_b64 v12, v[13:14], v[51:52] offset0:2 offset1:3
	ds_store_2addr_b64 v12, v[43:44], v[73:74] offset0:4 offset1:5
	;; [unrolled: 1-line block ×5, first 2 shown]
	ds_store_b64 v12, v[49:50] offset:96
.LBB0_7:
	s_wait_alu 0xfffe
	s_or_b32 exec_lo, exec_lo, s0
	v_and_b32_e32 v8, 0xff, v58
	s_load_b128 s[0:3], s[2:3], 0x0
	global_wb scope:SCOPE_SE
	s_wait_dscnt 0x0
	s_wait_kmcnt 0x0
	s_barrier_signal -1
	s_barrier_wait -1
	v_mul_lo_u16 v8, 0x4f, v8
	global_inv scope:SCOPE_SE
	v_lshrrev_b16 v8, 10, v8
	s_delay_alu instid0(VALU_DEP_1) | instskip(NEXT) | instid1(VALU_DEP_1)
	v_mul_lo_u16 v9, v8, 13
	v_sub_nc_u16 v9, v58, v9
	s_delay_alu instid0(VALU_DEP_1) | instskip(NEXT) | instid1(VALU_DEP_1)
	v_and_b32_e32 v38, 0xff, v9
	v_mul_u32_u24_e32 v9, 6, v38
	s_delay_alu instid0(VALU_DEP_1)
	v_lshlrev_b32_e32 v9, 3, v9
	s_clause 0x2
	global_load_b128 v[20:23], v9, s[4:5]
	global_load_b128 v[16:19], v9, s[4:5] offset:16
	global_load_b128 v[12:15], v9, s[4:5] offset:32
	v_add_nc_u32_e32 v52, 0x400, v57
	v_add_nc_u32_e32 v51, 0x800, v57
	ds_load_2addr_b64 v[24:27], v57 offset1:91
	ds_load_2addr_b64 v[28:31], v52 offset0:54 offset1:145
	ds_load_2addr_b64 v[32:35], v51 offset0:108 offset1:199
	v_and_b32_e32 v36, 0xffff, v8
	ds_load_b64 v[8:9], v57 offset:4368
	global_wb scope:SCOPE_SE
	s_wait_loadcnt_dscnt 0x0
	s_barrier_signal -1
	s_barrier_wait -1
	global_inv scope:SCOPE_SE
	v_dual_mul_f32 v40, v29, v23 :: v_dual_mul_f32 v43, v30, v17
	v_mul_u32_u24_e32 v39, 0x5b, v36
	v_dual_mul_f32 v41, v28, v23 :: v_dual_mul_f32 v42, v31, v17
	v_mul_f32_e32 v44, v33, v19
	v_mul_f32_e32 v45, v32, v19
	s_delay_alu instid0(VALU_DEP_4) | instskip(NEXT) | instid1(VALU_DEP_4)
	v_add_lshl_u32 v60, v39, v38, 3
	v_dual_fmac_f32 v41, v29, v22 :: v_dual_mul_f32 v38, v27, v21
	v_mul_f32_e32 v53, v9, v15
	v_mul_f32_e32 v39, v26, v21
	v_dual_mul_f32 v46, v35, v13 :: v_dual_fmac_f32 v45, v33, v18
	v_dual_mul_f32 v47, v34, v13 :: v_dual_mul_f32 v54, v8, v15
	v_fma_f32 v26, v26, v20, -v38
	s_delay_alu instid0(VALU_DEP_4)
	v_fmac_f32_e32 v39, v27, v20
	v_fma_f32 v27, v28, v22, -v40
	v_fma_f32 v28, v30, v16, -v42
	v_fmac_f32_e32 v54, v9, v14
	v_fma_f32 v29, v32, v18, -v44
	v_fmac_f32_e32 v43, v31, v16
	v_fma_f32 v8, v8, v14, -v53
	v_fma_f32 v9, v34, v12, -v46
	s_delay_alu instid0(VALU_DEP_4) | instskip(SKIP_1) | instid1(VALU_DEP_4)
	v_dual_add_f32 v31, v39, v54 :: v_dual_add_f32 v34, v28, v29
	v_sub_f32_e32 v28, v29, v28
	v_add_f32_e32 v30, v26, v8
	s_delay_alu instid0(VALU_DEP_4) | instskip(SKIP_2) | instid1(VALU_DEP_3)
	v_dual_add_f32 v32, v27, v9 :: v_dual_sub_f32 v29, v45, v43
	v_fmac_f32_e32 v47, v35, v12
	v_sub_f32_e32 v9, v27, v9
	v_dual_add_f32 v35, v43, v45 :: v_dual_sub_f32 v40, v32, v30
	v_add_f32_e32 v38, v32, v30
	s_delay_alu instid0(VALU_DEP_4) | instskip(SKIP_2) | instid1(VALU_DEP_3)
	v_dual_sub_f32 v8, v26, v8 :: v_dual_add_f32 v33, v41, v47
	v_dual_sub_f32 v26, v39, v54 :: v_dual_sub_f32 v27, v41, v47
	v_sub_f32_e32 v30, v30, v34
	v_dual_sub_f32 v32, v34, v32 :: v_dual_add_f32 v39, v33, v31
	v_sub_f32_e32 v41, v33, v31
	v_dual_sub_f32 v31, v31, v35 :: v_dual_add_f32 v42, v28, v9
	v_sub_f32_e32 v33, v35, v33
	v_dual_add_f32 v43, v29, v27 :: v_dual_sub_f32 v44, v28, v9
	v_dual_sub_f32 v45, v29, v27 :: v_dual_add_f32 v34, v34, v38
	s_delay_alu instid0(VALU_DEP_4)
	v_dual_sub_f32 v27, v27, v26 :: v_dual_add_f32 v38, v42, v8
	v_dual_sub_f32 v28, v8, v28 :: v_dual_sub_f32 v29, v26, v29
	v_dual_sub_f32 v46, v9, v8 :: v_dual_add_f32 v35, v35, v39
	v_mul_f32_e32 v30, 0x3f4a47b2, v30
	v_dual_add_f32 v26, v43, v26 :: v_dual_mul_f32 v31, 0x3f4a47b2, v31
	v_dual_mul_f32 v39, 0x3d64c772, v32 :: v_dual_mul_f32 v42, 0x3d64c772, v33
	v_dual_mul_f32 v43, 0xbf08b237, v44 :: v_dual_mul_f32 v44, 0xbf08b237, v45
	v_dual_mul_f32 v47, 0x3f5ff5aa, v27 :: v_dual_add_f32 v8, v24, v34
	v_dual_add_f32 v9, v25, v35 :: v_dual_fmamk_f32 v24, v32, 0x3d64c772, v30
	s_delay_alu instid0(VALU_DEP_4)
	v_fma_f32 v32, 0x3f3bfb3b, v40, -v39
	v_fmamk_f32 v25, v33, 0x3d64c772, v31
	v_fma_f32 v33, 0x3f3bfb3b, v41, -v42
	v_fma_f32 v42, 0x3f5ff5aa, v27, -v44
	v_fmamk_f32 v27, v34, 0xbf955555, v8
	v_mul_f32_e32 v45, 0x3f5ff5aa, v46
	v_fma_f32 v30, 0xbf3bfb3b, v40, -v30
	v_fma_f32 v31, 0xbf3bfb3b, v41, -v31
	v_dual_fmamk_f32 v39, v28, 0x3eae86e6, v43 :: v_dual_fmamk_f32 v40, v29, 0x3eae86e6, v44
	v_fma_f32 v41, 0x3f5ff5aa, v46, -v43
	v_add_f32_e32 v34, v24, v27
	v_fma_f32 v43, 0xbeae86e6, v28, -v45
	v_fmamk_f32 v28, v35, 0xbf955555, v9
	v_fma_f32 v44, 0xbeae86e6, v29, -v47
	v_dual_fmac_f32 v39, 0x3ee1c552, v38 :: v_dual_add_f32 v32, v32, v27
	s_delay_alu instid0(VALU_DEP_3)
	v_dual_fmac_f32 v40, 0x3ee1c552, v26 :: v_dual_add_f32 v35, v25, v28
	v_dual_fmac_f32 v42, 0x3ee1c552, v26 :: v_dual_add_f32 v45, v31, v28
	v_fmac_f32_e32 v41, 0x3ee1c552, v38
	v_dual_fmac_f32 v44, 0x3ee1c552, v26 :: v_dual_add_f32 v31, v33, v28
	v_dual_fmac_f32 v43, 0x3ee1c552, v38 :: v_dual_add_f32 v38, v30, v27
	v_mad_co_u64_u32 v[36:37], null, v58, 48, s[4:5]
	v_dual_add_f32 v24, v40, v34 :: v_dual_sub_f32 v25, v35, v39
	v_add_f32_e32 v30, v42, v32
	v_dual_sub_f32 v28, v32, v42 :: v_dual_add_f32 v29, v41, v31
	v_sub_f32_e32 v32, v38, v44
	v_dual_add_f32 v26, v44, v38 :: v_dual_sub_f32 v27, v45, v43
	v_dual_sub_f32 v31, v31, v41 :: v_dual_sub_f32 v34, v34, v40
	v_add_f32_e32 v33, v43, v45
	v_add_f32_e32 v35, v39, v35
	ds_store_2addr_b64 v60, v[8:9], v[24:25] offset1:13
	ds_store_2addr_b64 v60, v[26:27], v[28:29] offset0:26 offset1:39
	ds_store_2addr_b64 v60, v[30:31], v[32:33] offset0:52 offset1:65
	ds_store_b64 v60, v[34:35] offset:624
	global_wb scope:SCOPE_SE
	s_wait_dscnt 0x0
	s_barrier_signal -1
	s_barrier_wait -1
	global_inv scope:SCOPE_SE
	s_clause 0x2
	global_load_b128 v[32:35], v[36:37], off offset:624
	global_load_b128 v[28:31], v[36:37], off offset:640
	;; [unrolled: 1-line block ×3, first 2 shown]
	ds_load_2addr_b64 v[36:39], v57 offset1:91
	ds_load_2addr_b64 v[40:43], v52 offset0:54 offset1:145
	ds_load_2addr_b64 v[44:47], v51 offset0:108 offset1:199
	ds_load_b64 v[8:9], v57 offset:4368
	s_wait_loadcnt_dscnt 0x202
	v_dual_mul_f32 v54, v38, v33 :: v_dual_mul_f32 v55, v41, v35
	s_wait_loadcnt 0x1
	v_mul_f32_e32 v62, v42, v29
	v_dual_mul_f32 v56, v40, v35 :: v_dual_mul_f32 v61, v43, v29
	s_wait_loadcnt_dscnt 0x0
	v_dual_mul_f32 v68, v8, v27 :: v_dual_mul_f32 v65, v47, v25
	v_dual_mul_f32 v53, v39, v33 :: v_dual_mul_f32 v64, v44, v31
	v_dual_mul_f32 v63, v45, v31 :: v_dual_mul_f32 v66, v46, v25
	v_dual_mul_f32 v67, v9, v27 :: v_dual_fmac_f32 v54, v39, v32
	v_fma_f32 v39, v40, v34, -v55
	v_fmac_f32_e32 v56, v41, v34
	v_fmac_f32_e32 v68, v9, v26
	v_fma_f32 v9, v46, v24, -v65
	v_fma_f32 v38, v38, v32, -v53
	;; [unrolled: 1-line block ×5, first 2 shown]
	v_add_f32_e32 v44, v39, v9
	v_dual_sub_f32 v9, v39, v9 :: v_dual_fmac_f32 v64, v45, v30
	v_fmac_f32_e32 v66, v47, v24
	v_fmac_f32_e32 v62, v43, v28
	v_add_f32_e32 v43, v54, v68
	s_delay_alu instid0(VALU_DEP_3) | instskip(NEXT) | instid1(VALU_DEP_3)
	v_add_f32_e32 v45, v56, v66
	v_dual_add_f32 v47, v62, v64 :: v_dual_add_f32 v46, v40, v41
	v_dual_sub_f32 v40, v41, v40 :: v_dual_sub_f32 v41, v64, v62
	v_dual_add_f32 v42, v38, v8 :: v_dual_sub_f32 v39, v56, v66
	v_sub_f32_e32 v8, v38, v8
	v_sub_f32_e32 v38, v54, v68
	s_delay_alu instid0(VALU_DEP_3)
	v_dual_add_f32 v54, v45, v43 :: v_dual_add_f32 v53, v44, v42
	v_dual_sub_f32 v55, v44, v42 :: v_dual_sub_f32 v56, v45, v43
	v_dual_sub_f32 v43, v43, v47 :: v_dual_sub_f32 v42, v42, v46
	;; [unrolled: 1-line block ×3, first 2 shown]
	v_add_f32_e32 v61, v40, v9
	v_dual_sub_f32 v63, v40, v9 :: v_dual_add_f32 v62, v41, v39
	v_dual_sub_f32 v64, v41, v39 :: v_dual_add_f32 v47, v47, v54
	v_dual_sub_f32 v40, v8, v40 :: v_dual_mul_f32 v43, 0x3f4a47b2, v43
	v_sub_f32_e32 v9, v9, v8
	v_dual_sub_f32 v39, v39, v38 :: v_dual_add_f32 v46, v46, v53
	v_mul_f32_e32 v53, 0x3d64c772, v44
	v_dual_add_f32 v8, v61, v8 :: v_dual_mul_f32 v61, 0xbf08b237, v63
	v_dual_mul_f32 v42, 0x3f4a47b2, v42 :: v_dual_add_f32 v37, v37, v47
	v_dual_mul_f32 v54, 0x3d64c772, v45 :: v_dual_fmamk_f32 v45, v45, 0x3d64c772, v43
	v_sub_f32_e32 v41, v38, v41
	v_dual_add_f32 v38, v62, v38 :: v_dual_mul_f32 v63, 0x3f5ff5aa, v9
	v_fma_f32 v53, 0x3f3bfb3b, v55, -v53
	v_mul_f32_e32 v62, 0xbf08b237, v64
	v_fma_f32 v54, 0x3f3bfb3b, v56, -v54
	v_fmamk_f32 v44, v44, 0x3d64c772, v42
	v_fma_f32 v42, 0xbf3bfb3b, v55, -v42
	v_fmamk_f32 v55, v40, 0x3eae86e6, v61
	;; [unrolled: 2-line block ×3, first 2 shown]
	v_add_f32_e32 v36, v36, v46
	v_fma_f32 v9, 0x3f5ff5aa, v9, -v61
	v_fmac_f32_e32 v55, 0x3ee1c552, v8
	v_fma_f32 v61, 0x3f5ff5aa, v39, -v62
	v_fma_f32 v62, 0xbeae86e6, v40, -v63
	v_fmamk_f32 v40, v47, 0xbf955555, v37
	v_mul_f32_e32 v64, 0x3f5ff5aa, v39
	v_fmamk_f32 v39, v46, 0xbf955555, v36
	v_dual_fmac_f32 v56, 0x3ee1c552, v38 :: v_dual_fmac_f32 v9, 0x3ee1c552, v8
	s_delay_alu instid0(VALU_DEP_4) | instskip(NEXT) | instid1(VALU_DEP_4)
	v_add_f32_e32 v43, v43, v40
	v_fma_f32 v63, 0xbeae86e6, v41, -v64
	v_dual_fmac_f32 v61, 0x3ee1c552, v38 :: v_dual_fmac_f32 v62, 0x3ee1c552, v8
	v_add_f32_e32 v64, v45, v40
	v_add_f32_e32 v41, v53, v39
	;; [unrolled: 1-line block ×4, first 2 shown]
	v_sub_f32_e32 v45, v43, v62
	v_dual_fmac_f32 v63, 0x3ee1c552, v38 :: v_dual_add_f32 v8, v44, v39
	v_dual_sub_f32 v39, v64, v55 :: v_dual_sub_f32 v46, v41, v61
	s_delay_alu instid0(VALU_DEP_2) | instskip(NEXT) | instid1(VALU_DEP_3)
	v_dual_add_f32 v43, v62, v43 :: v_dual_add_f32 v44, v63, v42
	v_dual_add_f32 v38, v56, v8 :: v_dual_add_f32 v47, v9, v53
	v_add_f32_e32 v40, v61, v41
	v_sub_f32_e32 v41, v53, v9
	v_dual_add_f32 v9, v55, v64 :: v_dual_sub_f32 v42, v42, v63
	v_sub_f32_e32 v8, v8, v56
	ds_store_2addr_b64 v57, v[36:37], v[38:39] offset1:91
	ds_store_2addr_b64 v52, v[44:45], v[46:47] offset0:54 offset1:145
	ds_store_2addr_b64 v51, v[40:41], v[42:43] offset0:108 offset1:199
	ds_store_b64 v57, v[8:9] offset:4368
	global_wb scope:SCOPE_SE
	s_wait_dscnt 0x0
	s_barrier_signal -1
	s_barrier_wait -1
	global_inv scope:SCOPE_SE
	s_and_saveexec_b32 s6, vcc_lo
	s_cbranch_execz .LBB0_9
; %bb.8:
	s_add_nc_u64 s[4:5], s[8:9], 0x13e8
	s_clause 0xc
	global_load_b64 v[61:62], v57, s[8:9] offset:5096
	global_load_b64 v[63:64], v57, s[4:5] offset:392
	;; [unrolled: 1-line block ×13, first 2 shown]
	ds_load_2addr_b64 v[52:55], v57 offset1:49
	s_wait_loadcnt_dscnt 0xc00
	v_dual_mul_f32 v56, v53, v62 :: v_dual_add_nc_u32 v103, 0xc00, v57
	s_wait_loadcnt 0xb
	v_dual_mul_f32 v65, v52, v62 :: v_dual_mul_f32 v66, v55, v64
	v_mul_f32_e32 v62, v54, v64
	s_delay_alu instid0(VALU_DEP_3) | instskip(NEXT) | instid1(VALU_DEP_3)
	v_fma_f32 v64, v52, v61, -v56
	v_fmac_f32_e32 v65, v53, v61
	s_delay_alu instid0(VALU_DEP_4) | instskip(NEXT) | instid1(VALU_DEP_4)
	v_fma_f32 v61, v54, v63, -v66
	v_fmac_f32_e32 v62, v55, v63
	ds_store_2addr_b64 v57, v[64:65], v[61:62] offset1:49
	ds_load_2addr_b64 v[52:55], v57 offset0:98 offset1:147
	ds_load_2addr_b64 v[61:64], v57 offset0:196 offset1:245
	;; [unrolled: 1-line block ×5, first 2 shown]
	ds_load_b64 v[99:100], v57 offset:4704
	s_wait_loadcnt_dscnt 0xa05
	v_mul_f32_e32 v101, v53, v78
	v_mul_f32_e32 v102, v52, v78
	s_wait_loadcnt_dscnt 0x804
	v_dual_mul_f32 v104, v55, v80 :: v_dual_mul_f32 v105, v62, v82
	v_mul_f32_e32 v78, v54, v80
	v_mul_f32_e32 v56, v61, v82
	s_wait_loadcnt_dscnt 0x603
	v_dual_mul_f32 v106, v64, v84 :: v_dual_mul_f32 v107, v66, v86
	s_wait_loadcnt_dscnt 0x402
	v_dual_mul_f32 v80, v63, v84 :: v_dual_mul_f32 v109, v70, v90
	v_mul_f32_e32 v82, v65, v86
	s_wait_loadcnt_dscnt 0x201
	v_dual_mul_f32 v108, v68, v88 :: v_dual_mul_f32 v111, v74, v94
	v_mul_f32_e32 v84, v67, v88
	v_mul_f32_e32 v86, v69, v90
	;; [unrolled: 1-line block ×5, first 2 shown]
	s_wait_loadcnt 0x1
	v_mul_f32_e32 v112, v76, v96
	v_mul_f32_e32 v92, v75, v96
	s_wait_loadcnt_dscnt 0x0
	v_mul_f32_e32 v96, v100, v98
	v_mul_f32_e32 v94, v99, v98
	v_fma_f32 v101, v52, v77, -v101
	v_fmac_f32_e32 v102, v53, v77
	v_fma_f32 v77, v54, v79, -v104
	v_fmac_f32_e32 v78, v55, v79
	;; [unrolled: 2-line block ×11, first 2 shown]
	ds_store_2addr_b64 v57, v[101:102], v[77:78] offset0:98 offset1:147
	ds_store_2addr_b64 v57, v[55:56], v[79:80] offset0:196 offset1:245
	;; [unrolled: 1-line block ×5, first 2 shown]
	ds_store_b64 v57, v[93:94] offset:4704
.LBB0_9:
	s_wait_alu 0xfffe
	s_or_b32 exec_lo, exec_lo, s6
	global_wb scope:SCOPE_SE
	s_wait_dscnt 0x0
	s_barrier_signal -1
	s_barrier_wait -1
	global_inv scope:SCOPE_SE
	s_and_saveexec_b32 s4, vcc_lo
	s_cbranch_execz .LBB0_11
; %bb.10:
	v_add_nc_u32_e32 v0, 0x800, v57
	v_add_nc_u32_e32 v1, 0xc00, v57
	ds_load_2addr_b64 v[36:39], v57 offset1:49
	ds_load_2addr_b64 v[44:47], v57 offset0:98 offset1:147
	ds_load_2addr_b64 v[40:43], v57 offset0:196 offset1:245
	ds_load_2addr_b64 v[8:11], v0 offset0:38 offset1:87
	ds_load_2addr_b64 v[4:7], v0 offset0:136 offset1:185
	ds_load_2addr_b64 v[0:3], v1 offset0:106 offset1:155
	ds_load_b64 v[49:50], v57 offset:4704
.LBB0_11:
	s_wait_alu 0xfffe
	s_or_b32 exec_lo, exec_lo, s4
	global_wb scope:SCOPE_SE
	s_wait_dscnt 0x0
	s_barrier_signal -1
	s_barrier_wait -1
	global_inv scope:SCOPE_SE
	s_and_saveexec_b32 s4, vcc_lo
	s_cbranch_execz .LBB0_13
; %bb.12:
	v_dual_add_f32 v75, v50, v39 :: v_dual_sub_f32 v62, v44, v2
	v_dual_sub_f32 v65, v38, v49 :: v_dual_add_f32 v78, v1, v47
	v_dual_add_f32 v77, v3, v45 :: v_dual_add_f32 v82, v5, v43
	s_delay_alu instid0(VALU_DEP_3) | instskip(NEXT) | instid1(VALU_DEP_2)
	v_dual_mul_f32 v79, 0xbf788fa5, v75 :: v_dual_add_f32 v80, v7, v41
	v_dual_sub_f32 v84, v39, v50 :: v_dual_mul_f32 v81, 0x3f62ad3f, v77
	s_delay_alu instid0(VALU_DEP_2) | instskip(SKIP_1) | instid1(VALU_DEP_3)
	v_dual_add_f32 v68, v2, v44 :: v_dual_fmamk_f32 v51, v65, 0x3e750f2a, v79
	v_dual_sub_f32 v63, v46, v0 :: v_dual_add_f32 v66, v49, v38
	v_dual_fmamk_f32 v52, v62, 0xbeedf032, v81 :: v_dual_sub_f32 v61, v40, v6
	s_delay_alu instid0(VALU_DEP_3) | instskip(SKIP_2) | instid1(VALU_DEP_3)
	v_dual_sub_f32 v64, v42, v4 :: v_dual_add_f32 v51, v37, v51
	v_dual_mul_f32 v83, 0xbf3f9e67, v78 :: v_dual_sub_f32 v86, v45, v3
	v_dual_mul_f32 v85, 0x3f116cb1, v80 :: v_dual_add_f32 v90, v11, v9
	v_dual_add_f32 v51, v52, v51 :: v_dual_mul_f32 v88, 0xbe750f2a, v84
	s_delay_alu instid0(VALU_DEP_2) | instskip(SKIP_1) | instid1(VALU_DEP_3)
	v_dual_sub_f32 v91, v47, v1 :: v_dual_fmamk_f32 v52, v61, 0xbf52af12, v85
	v_dual_mul_f32 v87, 0xbeb58ec6, v82 :: v_dual_sub_f32 v94, v41, v7
	v_fmamk_f32 v54, v66, 0xbf788fa5, v88
	v_fmamk_f32 v53, v63, 0x3f29c268, v83
	v_dual_mul_f32 v89, 0x3eedf032, v86 :: v_dual_add_f32 v70, v6, v40
	v_dual_add_f32 v69, v0, v46 :: v_dual_mul_f32 v92, 0xbf29c268, v91
	s_delay_alu instid0(VALU_DEP_3) | instskip(SKIP_3) | instid1(VALU_DEP_4)
	v_dual_add_f32 v54, v36, v54 :: v_dual_add_f32 v51, v53, v51
	v_dual_fmamk_f32 v53, v64, 0x3f6f5d39, v87 :: v_dual_sub_f32 v96, v43, v5
	v_sub_f32_e32 v67, v8, v10
	v_mul_f32_e32 v95, 0x3f52af12, v94
	v_add_f32_e32 v51, v52, v51
	v_fmamk_f32 v52, v68, 0x3f62ad3f, v89
	v_add_f32_e32 v72, v4, v42
	v_mul_f32_e32 v98, 0xbf6f5d39, v96
	v_dual_fmamk_f32 v55, v70, 0x3f116cb1, v95 :: v_dual_mul_f32 v102, 0x3f116cb1, v78
	s_delay_alu instid0(VALU_DEP_4) | instskip(SKIP_4) | instid1(VALU_DEP_3)
	v_dual_add_f32 v51, v53, v51 :: v_dual_add_f32 v52, v52, v54
	v_mul_f32_e32 v93, 0x3df6dbef, v90
	v_fmamk_f32 v53, v69, 0xbf3f9e67, v92
	v_dual_sub_f32 v99, v9, v11 :: v_dual_mul_f32 v100, 0x3df6dbef, v77
	v_mul_f32_e32 v105, 0x3f7e222b, v86
	v_dual_fmamk_f32 v54, v67, 0xbf7e222b, v93 :: v_dual_add_f32 v53, v53, v52
	v_dual_add_f32 v71, v10, v8 :: v_dual_mul_f32 v106, 0x3f62ad3f, v82
	s_delay_alu instid0(VALU_DEP_3) | instskip(NEXT) | instid1(VALU_DEP_3)
	v_fmamk_f32 v56, v68, 0x3df6dbef, v105
	v_dual_add_f32 v52, v54, v51 :: v_dual_add_f32 v51, v55, v53
	v_fmamk_f32 v54, v72, 0xbeb58ec6, v98
	v_mul_f32_e32 v101, 0x3f7e222b, v99
	v_mul_f32_e32 v114, 0x3f62ad3f, v78
	v_mul_f32_e32 v107, 0xbf52af12, v91
	v_dual_mul_f32 v129, 0xbe750f2a, v86 :: v_dual_add_f32 v38, v38, v36
	s_delay_alu instid0(VALU_DEP_4) | instskip(NEXT) | instid1(VALU_DEP_4)
	v_dual_add_f32 v51, v54, v51 :: v_dual_fmamk_f32 v54, v71, 0x3df6dbef, v101
	v_fmamk_f32 v74, v63, 0xbeedf032, v114
	v_mul_f32_e32 v103, 0xbf29c268, v84
	v_mul_f32_e32 v97, 0xbf3f9e67, v75
	s_delay_alu instid0(VALU_DEP_4) | instskip(SKIP_1) | instid1(VALU_DEP_4)
	v_dual_mul_f32 v104, 0xbf788fa5, v80 :: v_dual_add_f32 v51, v54, v51
	v_dual_fmamk_f32 v131, v68, 0xbf788fa5, v129 :: v_dual_mul_f32 v140, 0xbf788fa5, v78
	v_fmamk_f32 v54, v66, 0xbf3f9e67, v103
	s_delay_alu instid0(VALU_DEP_4) | instskip(SKIP_2) | instid1(VALU_DEP_3)
	v_fmamk_f32 v53, v65, 0x3f29c268, v97
	v_mul_f32_e32 v108, 0xbeb58ec6, v90
	v_dual_mul_f32 v111, 0x3eedf032, v96 :: v_dual_mul_f32 v134, 0x3eedf032, v94
	v_dual_add_f32 v54, v36, v54 :: v_dual_add_f32 v53, v37, v53
	v_mul_f32_e32 v110, 0xbeb58ec6, v75
	v_mul_f32_e32 v124, 0xbf788fa5, v77
	v_mul_f32_e32 v109, 0x3e750f2a, v94
	s_delay_alu instid0(VALU_DEP_4) | instskip(SKIP_4) | instid1(VALU_DEP_4)
	v_add_f32_e32 v54, v56, v54
	v_fmamk_f32 v56, v69, 0x3f116cb1, v107
	v_fmamk_f32 v55, v62, 0xbf7e222b, v100
	v_mul_f32_e32 v118, 0xbf788fa5, v82
	v_fmamk_f32 v76, v62, 0x3e750f2a, v124
	v_dual_fmamk_f32 v73, v70, 0xbf788fa5, v109 :: v_dual_add_f32 v56, v56, v54
	s_delay_alu instid0(VALU_DEP_4)
	v_add_f32_e32 v53, v55, v53
	v_fmamk_f32 v55, v63, 0x3f52af12, v102
	v_mul_f32_e32 v112, 0xbf3f9e67, v77
	v_mul_f32_e32 v132, 0x3f6f5d39, v91
	;; [unrolled: 1-line block ×4, first 2 shown]
	v_add_f32_e32 v53, v55, v53
	v_fmamk_f32 v55, v61, 0xbe750f2a, v104
	v_dual_fmamk_f32 v136, v70, 0x3f62ad3f, v134 :: v_dual_mul_f32 v147, 0x3f62ad3f, v90
	v_mul_f32_e32 v115, 0xbf6f5d39, v84
	s_delay_alu instid0(VALU_DEP_3)
	v_dual_mul_f32 v122, 0x3df6dbef, v75 :: v_dual_add_f32 v53, v55, v53
	v_fmamk_f32 v55, v64, 0xbeedf032, v106
	v_mul_f32_e32 v116, 0x3df6dbef, v80
	v_mul_f32_e32 v138, 0xbeb58ec6, v77
	v_add_f32_e32 v39, v39, v37
	v_dual_mul_f32 v127, 0xbf7e222b, v84 :: v_dual_add_f32 v38, v44, v38
	v_add_f32_e32 v53, v55, v53
	v_fmamk_f32 v55, v67, 0x3f6f5d39, v108
	v_mul_f32_e32 v120, 0x3f116cb1, v90
	v_mul_f32_e32 v44, 0xbeedf032, v84
	;; [unrolled: 1-line block ×3, first 2 shown]
	s_delay_alu instid0(VALU_DEP_4) | instskip(SKIP_3) | instid1(VALU_DEP_4)
	v_dual_add_f32 v39, v45, v39 :: v_dual_add_f32 v54, v55, v53
	v_fmamk_f32 v53, v65, 0x3f6f5d39, v110
	v_dual_add_f32 v55, v73, v56 :: v_dual_fmamk_f32 v56, v72, 0x3f62ad3f, v111
	v_fmamk_f32 v73, v62, 0xbf29c268, v112
	v_add_f32_e32 v39, v47, v39
	s_delay_alu instid0(VALU_DEP_4) | instskip(SKIP_2) | instid1(VALU_DEP_3)
	v_add_f32_e32 v53, v37, v53
	v_dual_mul_f32 v137, 0xbf52af12, v96 :: v_dual_add_f32 v38, v46, v38
	v_dual_add_f32 v55, v56, v55 :: v_dual_fmamk_f32 v56, v71, 0xbeb58ec6, v113
	v_dual_add_f32 v73, v73, v53 :: v_dual_mul_f32 v150, 0x3f7e222b, v96
	v_add_f32_e32 v39, v41, v39
	v_fmamk_f32 v41, v66, 0x3f62ad3f, v44
	s_delay_alu instid0(VALU_DEP_4) | instskip(SKIP_4) | instid1(VALU_DEP_4)
	v_add_f32_e32 v53, v56, v55
	v_fmamk_f32 v55, v66, 0xbeb58ec6, v115
	v_dual_add_f32 v56, v74, v73 :: v_dual_fmamk_f32 v73, v61, 0x3f7e222b, v116
	v_mul_f32_e32 v128, 0x3f62ad3f, v80
	v_mul_f32_e32 v133, 0xbf3f9e67, v90
	v_add_f32_e32 v55, v36, v55
	v_dual_fmamk_f32 v139, v62, 0x3f6f5d39, v138 :: v_dual_add_f32 v38, v40, v38
	v_dual_add_f32 v56, v73, v56 :: v_dual_fmamk_f32 v73, v64, 0xbe750f2a, v118
	v_dual_add_f32 v40, v36, v41 :: v_dual_mul_f32 v117, 0x3f29c268, v86
	v_mul_f32_e32 v119, 0x3eedf032, v91
	v_mul_f32_e32 v144, 0x3df6dbef, v82
	s_delay_alu instid0(VALU_DEP_4) | instskip(SKIP_3) | instid1(VALU_DEP_4)
	v_dual_add_f32 v56, v73, v56 :: v_dual_fmamk_f32 v73, v67, 0xbf52af12, v120
	v_mul_f32_e32 v121, 0xbf7e222b, v94
	v_dual_mul_f32 v123, 0x3e750f2a, v96 :: v_dual_fmamk_f32 v142, v63, 0x3e750f2a, v140
	v_mul_f32_e32 v143, 0xbf3f9e67, v80
	v_add_f32_e32 v56, v73, v56
	v_fmamk_f32 v73, v65, 0x3f7e222b, v122
	v_dual_mul_f32 v141, 0xbf52af12, v84 :: v_dual_mul_f32 v46, 0xbf52af12, v86
	v_dual_add_f32 v39, v43, v39 :: v_dual_fmac_f32 v106, 0x3eedf032, v64
	s_delay_alu instid0(VALU_DEP_3) | instskip(SKIP_1) | instid1(VALU_DEP_4)
	v_add_f32_e32 v73, v37, v73
	v_mul_f32_e32 v43, 0xbf7e222b, v91
	v_fmamk_f32 v41, v68, 0x3f116cb1, v46
	s_delay_alu instid0(VALU_DEP_4) | instskip(NEXT) | instid1(VALU_DEP_4)
	v_dual_add_f32 v9, v9, v39 :: v_dual_fmac_f32 v110, 0xbf6f5d39, v65
	v_dual_add_f32 v73, v76, v73 :: v_dual_fmamk_f32 v76, v63, 0xbf6f5d39, v126
	s_delay_alu instid0(VALU_DEP_2) | instskip(SKIP_2) | instid1(VALU_DEP_4)
	v_dual_fmac_f32 v112, 0x3f29c268, v62 :: v_dual_add_f32 v9, v11, v9
	v_mul_f32_e32 v149, 0x3f62ad3f, v75
	v_fmac_f32_e32 v79, 0xbe750f2a, v65
	v_dual_add_f32 v73, v76, v73 :: v_dual_fmamk_f32 v76, v61, 0xbeedf032, v128
	v_dual_mul_f32 v130, 0x3f116cb1, v82 :: v_dual_mul_f32 v135, 0x3f116cb1, v75
	v_fmac_f32_e32 v81, 0x3eedf032, v62
	v_fma_f32 v44, 0x3f62ad3f, v66, -v44
	s_delay_alu instid0(VALU_DEP_4) | instskip(NEXT) | instid1(VALU_DEP_4)
	v_add_f32_e32 v73, v76, v73
	v_dual_mul_f32 v125, 0x3f52af12, v99 :: v_dual_fmamk_f32 v76, v64, 0x3f52af12, v130
	v_mul_f32_e32 v80, 0xbeb58ec6, v80
	v_add_f32_e32 v38, v42, v38
	v_add_f32_e32 v40, v41, v40
	v_fmamk_f32 v41, v69, 0x3df6dbef, v43
	v_dual_add_f32 v73, v76, v73 :: v_dual_fmamk_f32 v76, v67, 0x3f29c268, v133
	v_fmamk_f32 v74, v68, 0xbf3f9e67, v117
	v_add_f32_e32 v8, v8, v38
	v_mul_f32_e32 v38, 0xbf6f5d39, v94
	v_mul_f32_e32 v82, 0xbf3f9e67, v82
	s_delay_alu instid0(VALU_DEP_4)
	v_dual_add_f32 v40, v41, v40 :: v_dual_add_f32 v55, v74, v55
	v_fmamk_f32 v74, v69, 0x3f62ad3f, v119
	v_mul_f32_e32 v148, 0x3f29c268, v94
	v_mul_f32_e32 v41, 0xbf29c268, v96
	v_add_f32_e32 v8, v10, v8
	v_fmamk_f32 v10, v70, 0xbeb58ec6, v38
	v_add_f32_e32 v55, v74, v55
	v_fmamk_f32 v74, v70, 0x3df6dbef, v121
	v_mul_f32_e32 v77, 0x3f116cb1, v77
	v_fma_f32 v38, 0xbeb58ec6, v70, -v38
	v_add_f32_e32 v4, v4, v8
	v_add_f32_e32 v8, v10, v40
	v_dual_add_f32 v55, v74, v55 :: v_dual_fmamk_f32 v74, v72, 0xbf788fa5, v123
	v_dual_mul_f32 v40, 0xbe750f2a, v99 :: v_dual_add_f32 v9, v5, v9
	v_fmac_f32_e32 v108, 0xbf6f5d39, v67
	v_dual_fmamk_f32 v47, v64, 0x3f29c268, v82 :: v_dual_add_f32 v4, v6, v4
	s_delay_alu instid0(VALU_DEP_4) | instskip(NEXT) | instid1(VALU_DEP_4)
	v_dual_add_f32 v55, v74, v55 :: v_dual_fmamk_f32 v74, v71, 0x3f116cb1, v125
	v_add_f32_e32 v7, v7, v9
	v_fmamk_f32 v9, v72, 0xbf3f9e67, v41
	v_fmac_f32_e32 v126, 0x3f6f5d39, v63
	v_fma_f32 v10, 0x3df6dbef, v68, -v105
	v_add_f32_e32 v55, v74, v55
	v_dual_fmamk_f32 v74, v66, 0x3df6dbef, v127 :: v_dual_add_f32 v1, v1, v7
	v_fmac_f32_e32 v116, 0xbf7e222b, v61
	v_dual_add_f32 v6, v9, v8 :: v_dual_fmamk_f32 v7, v71, 0xbf788fa5, v40
	s_delay_alu instid0(VALU_DEP_3)
	v_add_f32_e32 v74, v36, v74
	v_mul_f32_e32 v78, 0x3df6dbef, v78
	v_fma_f32 v8, 0xbeb58ec6, v72, -v98
	v_fma_f32 v40, 0xbf788fa5, v71, -v40
	v_add_f32_e32 v1, v3, v1
	v_dual_add_f32 v74, v131, v74 :: v_dual_fmamk_f32 v131, v69, 0xbeb58ec6, v132
	v_dual_add_f32 v0, v0, v4 :: v_dual_add_f32 v3, v37, v79
	v_fmac_f32_e32 v118, 0x3e750f2a, v64
	v_fmamk_f32 v151, v62, 0x3f52af12, v77
	s_delay_alu instid0(VALU_DEP_4) | instskip(SKIP_2) | instid1(VALU_DEP_3)
	v_dual_add_f32 v131, v131, v74 :: v_dual_add_f32 v74, v76, v73
	v_dual_fmamk_f32 v73, v65, 0x3f52af12, v135 :: v_dual_add_f32 v4, v7, v6
	v_fma_f32 v6, 0xbf788fa5, v66, -v88
	v_add_f32_e32 v76, v136, v131
	v_fmamk_f32 v131, v72, 0x3f116cb1, v137
	s_delay_alu instid0(VALU_DEP_4) | instskip(SKIP_2) | instid1(VALU_DEP_4)
	v_dual_mul_f32 v136, 0xbf29c268, v99 :: v_dual_add_f32 v73, v37, v73
	v_add_f32_e32 v0, v2, v0
	v_add_f32_e32 v2, v81, v3
	v_add_f32_e32 v76, v131, v76
	s_delay_alu instid0(VALU_DEP_4) | instskip(SKIP_3) | instid1(VALU_DEP_4)
	v_fmamk_f32 v131, v71, 0xbf3f9e67, v136
	v_add_f32_e32 v139, v139, v73
	v_fmac_f32_e32 v83, 0xbf29c268, v63
	v_dual_add_f32 v3, v36, v6 :: v_dual_fmac_f32 v122, 0xbf7e222b, v65
	v_dual_add_f32 v73, v131, v76 :: v_dual_fmamk_f32 v76, v66, 0x3f116cb1, v141
	v_mul_f32_e32 v131, 0xbf6f5d39, v86
	v_dual_add_f32 v139, v142, v139 :: v_dual_fmamk_f32 v142, v61, 0xbf29c268, v143
	v_fma_f32 v6, 0x3f62ad3f, v68, -v89
	s_delay_alu instid0(VALU_DEP_4) | instskip(NEXT) | instid1(VALU_DEP_4)
	v_add_f32_e32 v76, v36, v76
	v_dual_fmamk_f32 v145, v68, 0xbeb58ec6, v131 :: v_dual_add_f32 v0, v49, v0
	s_delay_alu instid0(VALU_DEP_4) | instskip(SKIP_1) | instid1(VALU_DEP_3)
	v_dual_add_f32 v139, v142, v139 :: v_dual_fmamk_f32 v142, v64, 0xbf7e222b, v144
	v_add_f32_e32 v2, v83, v2
	v_add_f32_e32 v76, v145, v76
	v_fmamk_f32 v145, v69, 0xbf788fa5, v146
	v_fmac_f32_e32 v85, 0x3f52af12, v61
	v_dual_add_f32 v139, v142, v139 :: v_dual_fmamk_f32 v142, v67, 0xbeedf032, v147
	v_fma_f32 v42, 0x3df6dbef, v70, -v121
	s_delay_alu instid0(VALU_DEP_4) | instskip(SKIP_1) | instid1(VALU_DEP_4)
	v_add_f32_e32 v75, v145, v76
	v_fmamk_f32 v145, v70, 0xbf3f9e67, v148
	v_dual_fmac_f32 v97, 0xbf29c268, v65 :: v_dual_add_f32 v76, v142, v139
	v_dual_fmamk_f32 v142, v72, 0x3df6dbef, v150 :: v_dual_add_f32 v3, v6, v3
	s_delay_alu instid0(VALU_DEP_3) | instskip(SKIP_1) | instid1(VALU_DEP_4)
	v_dual_fmac_f32 v124, 0xbe750f2a, v62 :: v_dual_add_f32 v75, v145, v75
	v_mul_f32_e32 v145, 0x3eedf032, v99
	v_dual_add_f32 v7, v37, v97 :: v_dual_fmac_f32 v100, 0x3f7e222b, v62
	s_delay_alu instid0(VALU_DEP_3) | instskip(NEXT) | instid1(VALU_DEP_3)
	v_dual_add_f32 v2, v85, v2 :: v_dual_add_f32 v75, v142, v75
	v_fmamk_f32 v142, v71, 0x3f62ad3f, v145
	v_fmamk_f32 v139, v65, 0x3eedf032, v149
	v_fmac_f32_e32 v87, 0xbf6f5d39, v64
	v_fma_f32 v6, 0xbf3f9e67, v69, -v92
	v_add_f32_e32 v7, v100, v7
	v_add_f32_e32 v75, v142, v75
	;; [unrolled: 1-line block ×3, first 2 shown]
	v_fmac_f32_e32 v102, 0xbf52af12, v63
	v_add_f32_e32 v2, v87, v2
	v_dual_fmac_f32 v104, 0x3e750f2a, v61 :: v_dual_add_f32 v3, v6, v3
	s_delay_alu instid0(VALU_DEP_4) | instskip(SKIP_4) | instid1(VALU_DEP_4)
	v_add_f32_e32 v139, v151, v139
	v_fmamk_f32 v151, v63, 0x3f7e222b, v78
	v_fma_f32 v6, 0x3f116cb1, v70, -v95
	v_dual_add_f32 v7, v102, v7 :: v_dual_fmac_f32 v128, 0x3eedf032, v61
	v_fmac_f32_e32 v93, 0x3f7e222b, v67
	v_add_f32_e32 v45, v151, v139
	s_delay_alu instid0(VALU_DEP_4) | instskip(NEXT) | instid1(VALU_DEP_4)
	v_dual_fmamk_f32 v139, v61, 0x3f6f5d39, v80 :: v_dual_add_f32 v6, v6, v3
	v_dual_add_f32 v7, v104, v7 :: v_dual_fmac_f32 v138, 0xbf6f5d39, v62
	s_delay_alu instid0(VALU_DEP_4) | instskip(NEXT) | instid1(VALU_DEP_3)
	v_dual_add_f32 v3, v93, v2 :: v_dual_fmac_f32 v130, 0xbf52af12, v64
	v_add_f32_e32 v45, v139, v45
	v_fma_f32 v2, 0xbf3f9e67, v66, -v103
	v_add_f32_e32 v6, v8, v6
	v_fma_f32 v8, 0x3df6dbef, v71, -v101
	s_delay_alu instid0(VALU_DEP_4) | instskip(NEXT) | instid1(VALU_DEP_4)
	v_dual_fmac_f32 v140, 0xbe750f2a, v63 :: v_dual_add_f32 v45, v47, v45
	v_dual_add_f32 v9, v36, v2 :: v_dual_fmac_f32 v114, 0x3eedf032, v63
	s_delay_alu instid0(VALU_DEP_3) | instskip(SKIP_2) | instid1(VALU_DEP_4)
	v_add_f32_e32 v2, v8, v6
	v_add_f32_e32 v6, v106, v7
	v_fmac_f32_e32 v120, 0x3f52af12, v67
	v_add_f32_e32 v8, v10, v9
	v_fma_f32 v9, 0x3f116cb1, v69, -v107
	v_mul_f32_e32 v39, 0xbf788fa5, v90
	v_add_f32_e32 v10, v37, v110
	v_add_f32_e32 v7, v108, v6
	v_fma_f32 v6, 0xbeb58ec6, v66, -v115
	s_delay_alu instid0(VALU_DEP_4) | instskip(SKIP_2) | instid1(VALU_DEP_4)
	v_dual_add_f32 v8, v9, v8 :: v_dual_fmamk_f32 v11, v67, 0x3e750f2a, v39
	v_fma_f32 v9, 0xbf788fa5, v70, -v109
	v_add_f32_e32 v10, v112, v10
	v_add_f32_e32 v6, v36, v6
	s_delay_alu instid0(VALU_DEP_4)
	v_dual_fmac_f32 v144, 0x3f7e222b, v64 :: v_dual_add_f32 v5, v11, v45
	v_fma_f32 v11, 0xbf3f9e67, v68, -v117
	v_add_f32_e32 v8, v9, v8
	v_fma_f32 v9, 0x3f62ad3f, v72, -v111
	v_add_f32_e32 v10, v114, v10
	;; [unrolled: 2-line block ×4, first 2 shown]
	v_fma_f32 v9, 0xbeb58ec6, v71, -v113
	v_dual_add_f32 v10, v116, v10 :: v_dual_add_f32 v1, v50, v1
	s_delay_alu instid0(VALU_DEP_4) | instskip(NEXT) | instid1(VALU_DEP_3)
	v_add_f32_e32 v11, v11, v6
	v_dual_fmac_f32 v143, 0x3f29c268, v61 :: v_dual_add_f32 v6, v9, v8
	s_delay_alu instid0(VALU_DEP_3) | instskip(SKIP_1) | instid1(VALU_DEP_4)
	v_add_f32_e32 v8, v118, v10
	v_fmac_f32_e32 v78, 0xbf7e222b, v63
	v_add_f32_e32 v10, v42, v11
	v_fma_f32 v11, 0xbf788fa5, v72, -v123
	s_delay_alu instid0(VALU_DEP_4) | instskip(SKIP_2) | instid1(VALU_DEP_4)
	v_dual_add_f32 v42, v37, v122 :: v_dual_add_f32 v9, v120, v8
	v_fma_f32 v8, 0x3df6dbef, v66, -v127
	v_fma_f32 v43, 0x3df6dbef, v69, -v43
	v_add_f32_e32 v10, v11, v10
	v_fma_f32 v11, 0x3f116cb1, v71, -v125
	v_add_f32_e32 v42, v124, v42
	v_add_f32_e32 v45, v36, v8
	v_fmac_f32_e32 v82, 0xbf29c268, v64
	v_fma_f32 v50, 0xbeb58ec6, v68, -v131
	v_add_f32_e32 v8, v11, v10
	s_delay_alu instid0(VALU_DEP_4) | instskip(SKIP_3) | instid1(VALU_DEP_4)
	v_dual_add_f32 v10, v126, v42 :: v_dual_add_f32 v11, v47, v45
	v_fma_f32 v42, 0xbeb58ec6, v69, -v132
	v_fma_f32 v47, 0x3f116cb1, v72, -v137
	v_fmac_f32_e32 v80, 0xbf6f5d39, v61
	v_dual_add_f32 v10, v128, v10 :: v_dual_fmac_f32 v135, 0xbf52af12, v65
	s_delay_alu instid0(VALU_DEP_4) | instskip(SKIP_1) | instid1(VALU_DEP_3)
	v_add_f32_e32 v11, v42, v11
	v_fma_f32 v42, 0x3f62ad3f, v70, -v134
	v_dual_fmac_f32 v147, 0x3eedf032, v67 :: v_dual_add_f32 v10, v130, v10
	v_fmac_f32_e32 v39, 0xbe750f2a, v67
	s_delay_alu instid0(VALU_DEP_3) | instskip(NEXT) | instid1(VALU_DEP_1)
	v_add_f32_e32 v42, v42, v11
	v_dual_add_f32 v45, v37, v135 :: v_dual_add_f32 v42, v47, v42
	s_delay_alu instid0(VALU_DEP_1) | instskip(SKIP_1) | instid1(VALU_DEP_2)
	v_add_f32_e32 v45, v138, v45
	v_fma_f32 v47, 0xbf3f9e67, v71, -v136
	v_add_f32_e32 v45, v140, v45
	s_delay_alu instid0(VALU_DEP_1) | instskip(SKIP_1) | instid1(VALU_DEP_1)
	v_add_f32_e32 v45, v143, v45
	v_fmac_f32_e32 v133, 0xbf29c268, v67
	v_add_f32_e32 v11, v133, v10
	v_fma_f32 v10, 0x3f116cb1, v66, -v141
	s_delay_alu instid0(VALU_DEP_1)
	v_add_f32_e32 v49, v36, v10
	v_add_f32_e32 v36, v36, v44
	v_fma_f32 v44, 0x3f116cb1, v68, -v46
	v_add_f32_e32 v10, v47, v42
	v_add_f32_e32 v42, v144, v45
	;; [unrolled: 1-line block ×3, first 2 shown]
	v_fma_f32 v47, 0xbf788fa5, v69, -v146
	v_add_f32_e32 v36, v44, v36
	v_fma_f32 v46, 0xbf3f9e67, v70, -v148
	s_delay_alu instid0(VALU_DEP_2) | instskip(NEXT) | instid1(VALU_DEP_1)
	v_dual_add_f32 v36, v43, v36 :: v_dual_fmac_f32 v149, 0xbeedf032, v65
	v_add_f32_e32 v36, v38, v36
	v_fma_f32 v38, 0xbf3f9e67, v72, -v41
	v_fma_f32 v41, 0x3f62ad3f, v71, -v145
	v_add_f32_e32 v45, v47, v45
	s_delay_alu instid0(VALU_DEP_3) | instskip(NEXT) | instid1(VALU_DEP_2)
	v_dual_add_f32 v37, v37, v149 :: v_dual_add_f32 v38, v38, v36
	v_add_f32_e32 v44, v46, v45
	v_fma_f32 v45, 0x3df6dbef, v72, -v150
	s_delay_alu instid0(VALU_DEP_1) | instskip(SKIP_1) | instid1(VALU_DEP_2)
	v_dual_add_f32 v38, v40, v38 :: v_dual_add_f32 v43, v45, v44
	v_and_b32_e32 v44, 0xffff, v59
	v_dual_fmac_f32 v77, 0xbf52af12, v62 :: v_dual_add_f32 v36, v41, v43
	s_delay_alu instid0(VALU_DEP_1) | instskip(NEXT) | instid1(VALU_DEP_1)
	v_dual_add_f32 v37, v77, v37 :: v_dual_lshlrev_b32 v44, 3, v44
	v_add_f32_e32 v37, v78, v37
	s_delay_alu instid0(VALU_DEP_1) | instskip(NEXT) | instid1(VALU_DEP_1)
	v_add_f32_e32 v37, v80, v37
	v_add_f32_e32 v45, v82, v37
	;; [unrolled: 1-line block ×3, first 2 shown]
	s_delay_alu instid0(VALU_DEP_2)
	v_add_f32_e32 v39, v39, v45
	ds_store_2addr_b64 v44, v[0:1], v[4:5] offset1:1
	ds_store_2addr_b64 v44, v[75:76], v[73:74] offset0:2 offset1:3
	ds_store_2addr_b64 v44, v[55:56], v[53:54] offset0:4 offset1:5
	;; [unrolled: 1-line block ×5, first 2 shown]
	ds_store_b64 v44, v[38:39] offset:96
.LBB0_13:
	s_wait_alu 0xfffe
	s_or_b32 exec_lo, exec_lo, s4
	global_wb scope:SCOPE_SE
	s_wait_dscnt 0x0
	s_barrier_signal -1
	s_barrier_wait -1
	global_inv scope:SCOPE_SE
	ds_load_2addr_b64 v[2:5], v57 offset1:91
	ds_load_b64 v[10:11], v57 offset:4368
	v_add_nc_u32_e32 v0, 0x400, v57
	s_wait_dscnt 0x0
	v_dual_mul_f32 v40, v21, v5 :: v_dual_mul_f32 v41, v15, v11
	v_add_nc_u32_e32 v1, 0x800, v57
	v_mul_f32_e32 v21, v21, v4
	s_delay_alu instid0(VALU_DEP_3)
	v_fmac_f32_e32 v40, v20, v4
	ds_load_2addr_b64 v[6:9], v0 offset0:54 offset1:145
	ds_load_2addr_b64 v[36:39], v1 offset0:108 offset1:199
	v_mul_f32_e32 v15, v15, v10
	v_fma_f32 v4, v20, v5, -v21
	global_wb scope:SCOPE_SE
	s_wait_dscnt 0x0
	s_barrier_signal -1
	s_barrier_wait -1
	global_inv scope:SCOPE_SE
	v_dual_mul_f32 v20, v23, v6 :: v_dual_mul_f32 v21, v17, v9
	v_mul_f32_e32 v42, v13, v39
	s_delay_alu instid0(VALU_DEP_1) | instskip(NEXT) | instid1(VALU_DEP_1)
	v_dual_mul_f32 v5, v23, v7 :: v_dual_fmac_f32 v42, v12, v38
	v_fmac_f32_e32 v5, v22, v6
	s_delay_alu instid0(VALU_DEP_4)
	v_fma_f32 v6, v22, v7, -v20
	v_mul_f32_e32 v13, v13, v38
	v_fmac_f32_e32 v21, v16, v8
	v_fmac_f32_e32 v41, v14, v10
	v_fma_f32 v10, v14, v11, -v15
	v_mul_f32_e32 v17, v17, v8
	v_mul_f32_e32 v23, v19, v37
	;; [unrolled: 1-line block ×3, first 2 shown]
	s_delay_alu instid0(VALU_DEP_3)
	v_fma_f32 v7, v16, v9, -v17
	v_fma_f32 v9, v12, v39, -v13
	v_add_f32_e32 v12, v4, v10
	v_sub_f32_e32 v4, v4, v10
	v_dual_add_f32 v10, v5, v42 :: v_dual_fmac_f32 v23, v18, v36
	v_fma_f32 v8, v18, v37, -v19
	v_add_f32_e32 v14, v6, v9
	v_sub_f32_e32 v6, v6, v9
	s_delay_alu instid0(VALU_DEP_4) | instskip(NEXT) | instid1(VALU_DEP_4)
	v_sub_f32_e32 v16, v23, v21
	v_add_f32_e32 v15, v7, v8
	v_add_f32_e32 v11, v40, v41
	;; [unrolled: 1-line block ×3, first 2 shown]
	s_delay_alu instid0(VALU_DEP_3) | instskip(SKIP_1) | instid1(VALU_DEP_4)
	v_dual_sub_f32 v19, v14, v12 :: v_dual_sub_f32 v12, v12, v15
	v_dual_sub_f32 v14, v15, v14 :: v_dual_sub_f32 v13, v40, v41
	;; [unrolled: 1-line block ×3, first 2 shown]
	v_add_f32_e32 v9, v21, v23
	v_sub_f32_e32 v7, v8, v7
	v_add_f32_e32 v8, v10, v11
	s_delay_alu instid0(VALU_DEP_4) | instskip(SKIP_2) | instid1(VALU_DEP_4)
	v_add_f32_e32 v20, v16, v5
	v_sub_f32_e32 v22, v16, v5
	v_dual_sub_f32 v16, v13, v16 :: v_dual_sub_f32 v11, v11, v9
	v_add_f32_e32 v8, v9, v8
	v_sub_f32_e32 v10, v9, v10
	v_add_f32_e32 v21, v7, v6
	v_sub_f32_e32 v23, v7, v6
	s_delay_alu instid0(VALU_DEP_4) | instskip(SKIP_3) | instid1(VALU_DEP_4)
	v_dual_sub_f32 v7, v4, v7 :: v_dual_add_f32 v2, v2, v8
	v_dual_sub_f32 v5, v5, v13 :: v_dual_mul_f32 v12, 0x3f4a47b2, v12
	v_mul_f32_e32 v11, 0x3f4a47b2, v11
	v_dual_add_f32 v13, v20, v13 :: v_dual_mul_f32 v20, 0x3f08b237, v22
	v_dual_add_f32 v9, v15, v17 :: v_dual_fmamk_f32 v8, v8, 0xbf955555, v2
	v_dual_sub_f32 v6, v6, v4 :: v_dual_mul_f32 v17, 0x3d64c772, v14
	s_delay_alu instid0(VALU_DEP_2) | instskip(SKIP_2) | instid1(VALU_DEP_4)
	v_dual_add_f32 v4, v21, v4 :: v_dual_add_f32 v3, v3, v9
	v_fmamk_f32 v14, v14, 0x3d64c772, v12
	v_mul_f32_e32 v21, 0x3f08b237, v23
	v_dual_mul_f32 v22, 0xbf5ff5aa, v5 :: v_dual_mul_f32 v23, 0xbf5ff5aa, v6
	s_delay_alu instid0(VALU_DEP_4) | instskip(SKIP_3) | instid1(VALU_DEP_4)
	v_fmamk_f32 v9, v9, 0xbf955555, v3
	v_fma_f32 v17, 0x3f3bfb3b, v19, -v17
	v_mul_f32_e32 v15, 0x3d64c772, v10
	v_fma_f32 v12, 0xbf3bfb3b, v19, -v12
	v_add_f32_e32 v36, v14, v9
	s_delay_alu instid0(VALU_DEP_4)
	v_add_f32_e32 v14, v17, v9
	v_fmamk_f32 v10, v10, 0x3d64c772, v11
	v_fma_f32 v15, 0x3f3bfb3b, v18, -v15
	v_fma_f32 v11, 0xbf3bfb3b, v18, -v11
	v_fmamk_f32 v18, v16, 0xbeae86e6, v20
	v_fma_f32 v16, 0x3eae86e6, v16, -v22
	v_fma_f32 v22, 0x3eae86e6, v7, -v23
	;; [unrolled: 1-line block ×3, first 2 shown]
	v_add_f32_e32 v23, v10, v8
	v_add_f32_e32 v10, v15, v8
	;; [unrolled: 1-line block ×3, first 2 shown]
	v_dual_add_f32 v17, v12, v9 :: v_dual_fmac_f32 v22, 0xbee1c552, v4
	v_fmac_f32_e32 v20, 0xbee1c552, v13
	v_fmac_f32_e32 v16, 0xbee1c552, v13
	s_delay_alu instid0(VALU_DEP_3) | instskip(SKIP_4) | instid1(VALU_DEP_4)
	v_sub_f32_e32 v12, v15, v22
	v_fmamk_f32 v19, v7, 0xbeae86e6, v21
	v_fma_f32 v21, 0xbf5ff5aa, v6, -v21
	v_dual_fmac_f32 v18, 0xbee1c552, v13 :: v_dual_add_f32 v9, v20, v14
	v_sub_f32_e32 v11, v14, v20
	v_fmac_f32_e32 v19, 0xbee1c552, v4
	s_delay_alu instid0(VALU_DEP_4) | instskip(SKIP_1) | instid1(VALU_DEP_3)
	v_dual_fmac_f32 v21, 0xbee1c552, v4 :: v_dual_add_f32 v6, v22, v15
	v_sub_f32_e32 v7, v17, v16
	v_dual_add_f32 v13, v16, v17 :: v_dual_add_f32 v4, v19, v23
	v_dual_sub_f32 v14, v23, v19 :: v_dual_sub_f32 v5, v36, v18
	s_delay_alu instid0(VALU_DEP_4)
	v_sub_f32_e32 v8, v10, v21
	v_dual_add_f32 v10, v21, v10 :: v_dual_add_f32 v15, v18, v36
	ds_store_2addr_b64 v60, v[2:3], v[4:5] offset1:13
	ds_store_2addr_b64 v60, v[6:7], v[8:9] offset0:26 offset1:39
	ds_store_2addr_b64 v60, v[10:11], v[12:13] offset0:52 offset1:65
	ds_store_b64 v60, v[14:15] offset:624
	global_wb scope:SCOPE_SE
	s_wait_dscnt 0x0
	s_barrier_signal -1
	s_barrier_wait -1
	global_inv scope:SCOPE_SE
	ds_load_2addr_b64 v[2:5], v57 offset1:91
	ds_load_2addr_b64 v[6:9], v0 offset0:54 offset1:145
	ds_load_2addr_b64 v[10:13], v1 offset0:108 offset1:199
	ds_load_b64 v[14:15], v57 offset:4368
	s_wait_dscnt 0x3
	v_mul_f32_e32 v16, v33, v5
	s_wait_dscnt 0x2
	v_mul_f32_e32 v18, v29, v9
	s_wait_dscnt 0x1
	v_dual_mul_f32 v20, v31, v11 :: v_dual_mul_f32 v17, v33, v4
	v_mul_f32_e32 v19, v29, v8
	v_fmac_f32_e32 v16, v32, v4
	v_fmac_f32_e32 v18, v28, v8
	s_delay_alu instid0(VALU_DEP_4)
	v_fmac_f32_e32 v20, v30, v10
	v_fma_f32 v4, v32, v5, -v17
	v_mul_f32_e32 v5, v35, v7
	v_mul_f32_e32 v17, v35, v6
	s_wait_dscnt 0x0
	v_mul_f32_e32 v8, v27, v15
	v_mul_f32_e32 v10, v31, v10
	s_delay_alu instid0(VALU_DEP_2)
	v_fmac_f32_e32 v8, v26, v14
	v_fmac_f32_e32 v5, v34, v6
	v_fma_f32 v6, v34, v7, -v17
	v_fma_f32 v7, v28, v9, -v19
	v_mul_f32_e32 v19, v25, v12
	v_mul_f32_e32 v9, v27, v14
	v_fma_f32 v10, v30, v11, -v10
	s_delay_alu instid0(VALU_DEP_3) | instskip(NEXT) | instid1(VALU_DEP_1)
	v_fma_f32 v11, v24, v13, -v19
	v_dual_mul_f32 v17, v25, v13 :: v_dual_add_f32 v14, v6, v11
	s_delay_alu instid0(VALU_DEP_1)
	v_fmac_f32_e32 v17, v24, v12
	v_add_f32_e32 v12, v16, v8
	v_sub_f32_e32 v8, v16, v8
	v_fma_f32 v9, v26, v15, -v9
	v_sub_f32_e32 v6, v6, v11
	v_sub_f32_e32 v16, v20, v18
	s_delay_alu instid0(VALU_DEP_3) | instskip(SKIP_3) | instid1(VALU_DEP_2)
	v_add_f32_e32 v13, v4, v9
	v_sub_f32_e32 v4, v4, v9
	v_add_f32_e32 v9, v5, v17
	v_add_f32_e32 v15, v7, v10
	v_dual_sub_f32 v7, v10, v7 :: v_dual_add_f32 v10, v9, v12
	v_add_f32_e32 v11, v18, v20
	v_sub_f32_e32 v5, v5, v17
	v_dual_add_f32 v17, v14, v13 :: v_dual_sub_f32 v18, v9, v12
	v_dual_sub_f32 v19, v14, v13 :: v_dual_sub_f32 v14, v15, v14
	s_delay_alu instid0(VALU_DEP_4)
	v_add_f32_e32 v10, v11, v10
	v_sub_f32_e32 v12, v12, v11
	v_dual_sub_f32 v13, v13, v15 :: v_dual_add_f32 v20, v16, v5
	v_sub_f32_e32 v9, v11, v9
	v_dual_add_f32 v21, v7, v6 :: v_dual_sub_f32 v22, v16, v5
	v_dual_sub_f32 v16, v8, v16 :: v_dual_add_f32 v11, v15, v17
	v_mul_f32_e32 v12, 0x3f4a47b2, v12
	v_dual_sub_f32 v5, v5, v8 :: v_dual_add_f32 v2, v2, v10
	v_dual_sub_f32 v23, v7, v6 :: v_dual_add_f32 v8, v20, v8
	s_delay_alu instid0(VALU_DEP_4) | instskip(SKIP_1) | instid1(VALU_DEP_4)
	v_dual_add_f32 v3, v3, v11 :: v_dual_mul_f32 v20, 0x3f08b237, v22
	v_sub_f32_e32 v6, v6, v4
	v_dual_fmamk_f32 v10, v10, 0xbf955555, v2 :: v_dual_sub_f32 v7, v4, v7
	s_delay_alu instid0(VALU_DEP_3) | instskip(SKIP_4) | instid1(VALU_DEP_4)
	v_dual_add_f32 v4, v21, v4 :: v_dual_fmamk_f32 v11, v11, 0xbf955555, v3
	v_mul_f32_e32 v13, 0x3f4a47b2, v13
	v_mul_f32_e32 v15, 0x3d64c772, v9
	;; [unrolled: 1-line block ×4, first 2 shown]
	v_dual_fmamk_f32 v9, v9, 0x3d64c772, v12 :: v_dual_fmamk_f32 v14, v14, 0x3d64c772, v13
	s_delay_alu instid0(VALU_DEP_4)
	v_fma_f32 v15, 0x3f3bfb3b, v18, -v15
	v_mul_f32_e32 v21, 0x3f08b237, v23
	v_mul_f32_e32 v23, 0xbf5ff5aa, v6
	v_fma_f32 v12, 0xbf3bfb3b, v18, -v12
	v_add_f32_e32 v24, v14, v11
	v_add_f32_e32 v14, v15, v10
	v_fma_f32 v13, 0xbf3bfb3b, v19, -v13
	v_fmamk_f32 v18, v16, 0xbeae86e6, v20
	v_fma_f32 v16, 0x3eae86e6, v16, -v22
	v_fma_f32 v22, 0x3eae86e6, v7, -v23
	v_fma_f32 v17, 0x3f3bfb3b, v19, -v17
	v_fmamk_f32 v19, v7, 0xbeae86e6, v21
	v_fma_f32 v20, 0xbf5ff5aa, v5, -v20
	v_fma_f32 v21, 0xbf5ff5aa, v6, -v21
	v_dual_add_f32 v12, v12, v10 :: v_dual_add_f32 v13, v13, v11
	v_dual_fmac_f32 v22, 0xbee1c552, v4 :: v_dual_add_f32 v23, v9, v10
	v_dual_fmac_f32 v18, 0xbee1c552, v8 :: v_dual_add_f32 v15, v17, v11
	v_fmac_f32_e32 v20, 0xbee1c552, v8
	v_fmac_f32_e32 v21, 0xbee1c552, v4
	s_delay_alu instid0(VALU_DEP_4) | instskip(SKIP_2) | instid1(VALU_DEP_4)
	v_add_f32_e32 v6, v22, v12
	v_dual_sub_f32 v12, v12, v22 :: v_dual_fmac_f32 v19, 0xbee1c552, v4
	v_dual_fmac_f32 v16, 0xbee1c552, v8 :: v_dual_sub_f32 v5, v24, v18
	v_dual_sub_f32 v8, v14, v21 :: v_dual_add_f32 v9, v20, v15
	s_delay_alu instid0(VALU_DEP_2)
	v_dual_add_f32 v4, v19, v23 :: v_dual_sub_f32 v7, v13, v16
	v_dual_add_f32 v10, v21, v14 :: v_dual_sub_f32 v11, v15, v20
	;; [unrolled: 1-line block ×3, first 2 shown]
	v_add_f32_e32 v15, v18, v24
	ds_store_2addr_b64 v57, v[2:3], v[4:5] offset1:91
	ds_store_2addr_b64 v0, v[6:7], v[8:9] offset0:54 offset1:145
	ds_store_2addr_b64 v1, v[10:11], v[12:13] offset0:108 offset1:199
	ds_store_b64 v57, v[14:15] offset:4368
	global_wb scope:SCOPE_SE
	s_wait_dscnt 0x0
	s_barrier_signal -1
	s_barrier_wait -1
	global_inv scope:SCOPE_SE
	s_and_b32 exec_lo, exec_lo, vcc_lo
	s_cbranch_execz .LBB0_15
; %bb.14:
	s_clause 0xb
	global_load_b64 v[26:27], v57, s[8:9]
	global_load_b64 v[28:29], v57, s[8:9] offset:392
	global_load_b64 v[30:31], v57, s[8:9] offset:784
	;; [unrolled: 1-line block ×11, first 2 shown]
	v_mad_co_u64_u32 v[14:15], null, s2, v48, 0
	v_mad_co_u64_u32 v[51:52], null, s0, v58, 0
	s_delay_alu instid0(VALU_DEP_2) | instskip(NEXT) | instid1(VALU_DEP_1)
	v_mov_b32_e32 v2, v15
	v_mad_co_u64_u32 v[10:11], null, s3, v48, v[2:3]
	ds_load_b64 v[53:54], v57
	ds_load_2addr_b64 v[2:5], v57 offset0:49 offset1:98
	v_mov_b32_e32 v6, v52
	s_mov_b32 s2, 0xf5262dd1
	s_mov_b32 s3, 0x3f59b876
	v_mov_b32_e32 v15, v10
	ds_load_2addr_b64 v[10:13], v0 offset0:117 offset1:166
	v_add_nc_u32_e32 v0, 0x1000, v57
	v_lshlrev_b64_e32 v[55:56], 3, v[14:15]
	s_wait_loadcnt_dscnt 0xb02
	v_mul_f32_e32 v48, v54, v27
	v_mul_f32_e32 v27, v53, v27
	v_mad_co_u64_u32 v[16:17], null, s1, v58, v[6:7]
	ds_load_2addr_b64 v[6:9], v57 offset0:147 offset1:196
	s_mul_u64 s[0:1], s[0:1], 0x188
	s_wait_loadcnt_dscnt 0x601
	v_mul_f32_e32 v60, v11, v37
	v_mov_b32_e32 v52, v16
	ds_load_2addr_b64 v[14:17], v1 offset0:87 offset1:136
	ds_load_2addr_b64 v[18:21], v1 offset0:185 offset1:234
	ds_load_2addr_b64 v[22:25], v0 offset0:27 offset1:76
	s_wait_loadcnt 0x5
	v_mul_f32_e32 v61, v13, v39
	v_dual_mul_f32 v39, v12, v39 :: v_dual_fmac_f32 v60, v10, v36
	v_lshlrev_b64_e32 v[0:1], 3, v[51:52]
	v_add_co_u32 v52, vcc_lo, s12, v55
	v_mul_f32_e32 v51, v3, v29
	v_mul_f32_e32 v29, v2, v29
	v_add_co_ci_u32_e32 v55, vcc_lo, s13, v56, vcc_lo
	v_mul_f32_e32 v56, v5, v31
	s_wait_dscnt 0x3
	v_dual_mul_f32 v31, v4, v31 :: v_dual_mul_f32 v58, v7, v33
	v_mul_f32_e32 v59, v9, v35
	v_mul_f32_e32 v33, v6, v33
	;; [unrolled: 1-line block ×3, first 2 shown]
	s_wait_loadcnt_dscnt 0x402
	v_dual_fmac_f32 v51, v2, v28 :: v_dual_mul_f32 v62, v15, v41
	v_fmac_f32_e32 v59, v8, v34
	v_dual_mul_f32 v37, v10, v37 :: v_dual_fmac_f32 v48, v53, v26
	v_fma_f32 v26, v26, v54, -v27
	v_fma_f32 v27, v28, v3, -v29
	v_dual_mul_f32 v41, v14, v41 :: v_dual_fmac_f32 v56, v4, v30
	v_fma_f32 v28, v30, v5, -v31
	s_wait_loadcnt 0x3
	v_mul_f32_e32 v63, v17, v43
	v_dual_mul_f32 v43, v16, v43 :: v_dual_fmac_f32 v58, v6, v32
	s_wait_loadcnt_dscnt 0x0
	v_mul_f32_e32 v66, v23, v50
	v_fma_f32 v29, v32, v7, -v33
	v_mul_f32_e32 v64, v19, v45
	v_mul_f32_e32 v45, v18, v45
	;; [unrolled: 1-line block ×3, first 2 shown]
	v_dual_mul_f32 v47, v20, v47 :: v_dual_fmac_f32 v62, v14, v40
	v_fma_f32 v30, v34, v9, -v35
	v_mul_f32_e32 v50, v22, v50
	v_fma_f32 v31, v36, v11, -v37
	v_cvt_f64_f32_e32 v[2:3], v48
	v_cvt_f64_f32_e32 v[4:5], v26
	v_dual_fmac_f32 v61, v12, v38 :: v_dual_fmac_f32 v64, v18, v44
	v_fma_f32 v32, v38, v13, -v39
	v_cvt_f64_f32_e32 v[6:7], v51
	v_cvt_f64_f32_e32 v[8:9], v27
	v_fma_f32 v34, v40, v15, -v41
	v_cvt_f64_f32_e32 v[10:11], v56
	v_cvt_f64_f32_e32 v[12:13], v28
	v_dual_fmac_f32 v63, v16, v42 :: v_dual_fmac_f32 v66, v22, v49
	v_fma_f32 v38, v42, v17, -v43
	v_cvt_f64_f32_e32 v[14:15], v58
	v_cvt_f64_f32_e32 v[16:17], v29
	v_fma_f32 v42, v44, v19, -v45
	v_fmac_f32_e32 v65, v20, v46
	v_fma_f32 v46, v46, v21, -v47
	v_cvt_f64_f32_e32 v[18:19], v59
	v_cvt_f64_f32_e32 v[20:21], v30
	v_fma_f32 v50, v49, v23, -v50
	v_cvt_f64_f32_e32 v[22:23], v60
	v_cvt_f64_f32_e32 v[26:27], v31
	;; [unrolled: 1-line block ×14, first 2 shown]
	v_add_co_u32 v0, vcc_lo, v52, v0
	s_wait_alu 0xfffd
	v_add_co_ci_u32_e32 v1, vcc_lo, v55, v1, vcc_lo
	s_wait_alu 0xfffe
	v_mul_f64_e32 v[2:3], s[2:3], v[2:3]
	v_mul_f64_e32 v[4:5], s[2:3], v[4:5]
	v_add_co_u32 v52, vcc_lo, v0, s0
	v_mul_f64_e32 v[6:7], s[2:3], v[6:7]
	v_mul_f64_e32 v[8:9], s[2:3], v[8:9]
	s_wait_alu 0xfffd
	v_add_co_ci_u32_e32 v53, vcc_lo, s1, v1, vcc_lo
	v_mul_f64_e32 v[10:11], s[2:3], v[10:11]
	v_mul_f64_e32 v[12:13], s[2:3], v[12:13]
	v_add_co_u32 v54, vcc_lo, v52, s0
	v_mul_f64_e32 v[14:15], s[2:3], v[14:15]
	v_mul_f64_e32 v[16:17], s[2:3], v[16:17]
	s_wait_alu 0xfffd
	v_add_co_ci_u32_e32 v55, vcc_lo, s1, v53, vcc_lo
	v_add_co_u32 v58, vcc_lo, v54, s0
	v_mul_f64_e32 v[18:19], s[2:3], v[18:19]
	v_mul_f64_e32 v[20:21], s[2:3], v[20:21]
	;; [unrolled: 1-line block ×16, first 2 shown]
	s_wait_alu 0xfffd
	v_add_co_ci_u32_e32 v59, vcc_lo, s1, v55, vcc_lo
	v_add_co_u32 v60, vcc_lo, v58, s0
	v_cvt_f32_f64_e32 v2, v[2:3]
	v_cvt_f32_f64_e32 v3, v[4:5]
	s_wait_alu 0xfffd
	v_add_co_ci_u32_e32 v61, vcc_lo, s1, v59, vcc_lo
	v_cvt_f32_f64_e32 v4, v[6:7]
	v_cvt_f32_f64_e32 v5, v[8:9]
	v_add_co_u32 v62, vcc_lo, v60, s0
	v_cvt_f32_f64_e32 v6, v[10:11]
	v_cvt_f32_f64_e32 v7, v[12:13]
	s_wait_alu 0xfffd
	v_add_co_ci_u32_e32 v63, vcc_lo, s1, v61, vcc_lo
	v_cvt_f32_f64_e32 v8, v[14:15]
	v_cvt_f32_f64_e32 v9, v[16:17]
	v_cvt_f32_f64_e32 v10, v[18:19]
	v_cvt_f32_f64_e32 v11, v[20:21]
	v_cvt_f32_f64_e32 v12, v[22:23]
	v_cvt_f32_f64_e32 v13, v[26:27]
	v_cvt_f32_f64_e32 v14, v[28:29]
	v_cvt_f32_f64_e32 v15, v[30:31]
	v_cvt_f32_f64_e32 v16, v[32:33]
	v_cvt_f32_f64_e32 v17, v[34:35]
	v_cvt_f32_f64_e32 v18, v[36:37]
	v_cvt_f32_f64_e32 v19, v[38:39]
	v_cvt_f32_f64_e32 v20, v[40:41]
	v_cvt_f32_f64_e32 v21, v[42:43]
	v_cvt_f32_f64_e32 v22, v[44:45]
	v_cvt_f32_f64_e32 v23, v[46:47]
	v_cvt_f32_f64_e32 v26, v[48:49]
	v_cvt_f32_f64_e32 v27, v[50:51]
	v_add_co_u32 v28, vcc_lo, v62, s0
	s_wait_alu 0xfffd
	v_add_co_ci_u32_e32 v29, vcc_lo, s1, v63, vcc_lo
	s_delay_alu instid0(VALU_DEP_2) | instskip(SKIP_1) | instid1(VALU_DEP_2)
	v_add_co_u32 v30, vcc_lo, v28, s0
	s_wait_alu 0xfffd
	v_add_co_ci_u32_e32 v31, vcc_lo, s1, v29, vcc_lo
	s_delay_alu instid0(VALU_DEP_2) | instskip(SKIP_1) | instid1(VALU_DEP_2)
	;; [unrolled: 4-line block ×5, first 2 shown]
	v_add_co_u32 v38, vcc_lo, v36, s0
	s_wait_alu 0xfffd
	v_add_co_ci_u32_e32 v39, vcc_lo, s1, v37, vcc_lo
	s_clause 0x4
	global_store_b64 v[0:1], v[2:3], off
	global_store_b64 v[52:53], v[4:5], off
	;; [unrolled: 1-line block ×12, first 2 shown]
	global_load_b64 v[0:1], v57, s[8:9] offset:4704
	s_wait_loadcnt 0x0
	v_mul_f32_e32 v2, v25, v1
	v_mul_f32_e32 v1, v24, v1
	s_delay_alu instid0(VALU_DEP_2) | instskip(NEXT) | instid1(VALU_DEP_2)
	v_fmac_f32_e32 v2, v24, v0
	v_fma_f32 v3, v0, v25, -v1
	s_delay_alu instid0(VALU_DEP_2) | instskip(NEXT) | instid1(VALU_DEP_2)
	v_cvt_f64_f32_e32 v[0:1], v2
	v_cvt_f64_f32_e32 v[2:3], v3
	s_delay_alu instid0(VALU_DEP_2) | instskip(NEXT) | instid1(VALU_DEP_2)
	v_mul_f64_e32 v[0:1], s[2:3], v[0:1]
	v_mul_f64_e32 v[2:3], s[2:3], v[2:3]
	s_delay_alu instid0(VALU_DEP_2) | instskip(NEXT) | instid1(VALU_DEP_2)
	v_cvt_f32_f64_e32 v0, v[0:1]
	v_cvt_f32_f64_e32 v1, v[2:3]
	v_add_co_u32 v2, vcc_lo, v38, s0
	s_wait_alu 0xfffd
	v_add_co_ci_u32_e32 v3, vcc_lo, s1, v39, vcc_lo
	global_store_b64 v[2:3], v[0:1], off
.LBB0_15:
	s_nop 0
	s_sendmsg sendmsg(MSG_DEALLOC_VGPRS)
	s_endpgm
	.section	.rodata,"a",@progbits
	.p2align	6, 0x0
	.amdhsa_kernel bluestein_single_fwd_len637_dim1_sp_op_CI_CI
		.amdhsa_group_segment_fixed_size 5096
		.amdhsa_private_segment_fixed_size 0
		.amdhsa_kernarg_size 104
		.amdhsa_user_sgpr_count 2
		.amdhsa_user_sgpr_dispatch_ptr 0
		.amdhsa_user_sgpr_queue_ptr 0
		.amdhsa_user_sgpr_kernarg_segment_ptr 1
		.amdhsa_user_sgpr_dispatch_id 0
		.amdhsa_user_sgpr_private_segment_size 0
		.amdhsa_wavefront_size32 1
		.amdhsa_uses_dynamic_stack 0
		.amdhsa_enable_private_segment 0
		.amdhsa_system_sgpr_workgroup_id_x 1
		.amdhsa_system_sgpr_workgroup_id_y 0
		.amdhsa_system_sgpr_workgroup_id_z 0
		.amdhsa_system_sgpr_workgroup_info 0
		.amdhsa_system_vgpr_workitem_id 0
		.amdhsa_next_free_vgpr 152
		.amdhsa_next_free_sgpr 14
		.amdhsa_reserve_vcc 1
		.amdhsa_float_round_mode_32 0
		.amdhsa_float_round_mode_16_64 0
		.amdhsa_float_denorm_mode_32 3
		.amdhsa_float_denorm_mode_16_64 3
		.amdhsa_fp16_overflow 0
		.amdhsa_workgroup_processor_mode 1
		.amdhsa_memory_ordered 1
		.amdhsa_forward_progress 0
		.amdhsa_round_robin_scheduling 0
		.amdhsa_exception_fp_ieee_invalid_op 0
		.amdhsa_exception_fp_denorm_src 0
		.amdhsa_exception_fp_ieee_div_zero 0
		.amdhsa_exception_fp_ieee_overflow 0
		.amdhsa_exception_fp_ieee_underflow 0
		.amdhsa_exception_fp_ieee_inexact 0
		.amdhsa_exception_int_div_zero 0
	.end_amdhsa_kernel
	.text
.Lfunc_end0:
	.size	bluestein_single_fwd_len637_dim1_sp_op_CI_CI, .Lfunc_end0-bluestein_single_fwd_len637_dim1_sp_op_CI_CI
                                        ; -- End function
	.section	.AMDGPU.csdata,"",@progbits
; Kernel info:
; codeLenInByte = 12952
; NumSgprs: 16
; NumVgprs: 152
; ScratchSize: 0
; MemoryBound: 0
; FloatMode: 240
; IeeeMode: 1
; LDSByteSize: 5096 bytes/workgroup (compile time only)
; SGPRBlocks: 1
; VGPRBlocks: 18
; NumSGPRsForWavesPerEU: 16
; NumVGPRsForWavesPerEU: 152
; Occupancy: 9
; WaveLimiterHint : 1
; COMPUTE_PGM_RSRC2:SCRATCH_EN: 0
; COMPUTE_PGM_RSRC2:USER_SGPR: 2
; COMPUTE_PGM_RSRC2:TRAP_HANDLER: 0
; COMPUTE_PGM_RSRC2:TGID_X_EN: 1
; COMPUTE_PGM_RSRC2:TGID_Y_EN: 0
; COMPUTE_PGM_RSRC2:TGID_Z_EN: 0
; COMPUTE_PGM_RSRC2:TIDIG_COMP_CNT: 0
	.text
	.p2alignl 7, 3214868480
	.fill 96, 4, 3214868480
	.type	__hip_cuid_2513cc2f885246c3,@object ; @__hip_cuid_2513cc2f885246c3
	.section	.bss,"aw",@nobits
	.globl	__hip_cuid_2513cc2f885246c3
__hip_cuid_2513cc2f885246c3:
	.byte	0                               ; 0x0
	.size	__hip_cuid_2513cc2f885246c3, 1

	.ident	"AMD clang version 19.0.0git (https://github.com/RadeonOpenCompute/llvm-project roc-6.4.0 25133 c7fe45cf4b819c5991fe208aaa96edf142730f1d)"
	.section	".note.GNU-stack","",@progbits
	.addrsig
	.addrsig_sym __hip_cuid_2513cc2f885246c3
	.amdgpu_metadata
---
amdhsa.kernels:
  - .args:
      - .actual_access:  read_only
        .address_space:  global
        .offset:         0
        .size:           8
        .value_kind:     global_buffer
      - .actual_access:  read_only
        .address_space:  global
        .offset:         8
        .size:           8
        .value_kind:     global_buffer
      - .actual_access:  read_only
        .address_space:  global
        .offset:         16
        .size:           8
        .value_kind:     global_buffer
      - .actual_access:  read_only
        .address_space:  global
        .offset:         24
        .size:           8
        .value_kind:     global_buffer
      - .actual_access:  read_only
        .address_space:  global
        .offset:         32
        .size:           8
        .value_kind:     global_buffer
      - .offset:         40
        .size:           8
        .value_kind:     by_value
      - .address_space:  global
        .offset:         48
        .size:           8
        .value_kind:     global_buffer
      - .address_space:  global
        .offset:         56
        .size:           8
        .value_kind:     global_buffer
      - .address_space:  global
        .offset:         64
        .size:           8
        .value_kind:     global_buffer
      - .address_space:  global
        .offset:         72
        .size:           8
        .value_kind:     global_buffer
      - .offset:         80
        .size:           4
        .value_kind:     by_value
      - .address_space:  global
        .offset:         88
        .size:           8
        .value_kind:     global_buffer
      - .address_space:  global
        .offset:         96
        .size:           8
        .value_kind:     global_buffer
    .group_segment_fixed_size: 5096
    .kernarg_segment_align: 8
    .kernarg_segment_size: 104
    .language:       OpenCL C
    .language_version:
      - 2
      - 0
    .max_flat_workgroup_size: 91
    .name:           bluestein_single_fwd_len637_dim1_sp_op_CI_CI
    .private_segment_fixed_size: 0
    .sgpr_count:     16
    .sgpr_spill_count: 0
    .symbol:         bluestein_single_fwd_len637_dim1_sp_op_CI_CI.kd
    .uniform_work_group_size: 1
    .uses_dynamic_stack: false
    .vgpr_count:     152
    .vgpr_spill_count: 0
    .wavefront_size: 32
    .workgroup_processor_mode: 1
amdhsa.target:   amdgcn-amd-amdhsa--gfx1201
amdhsa.version:
  - 1
  - 2
...

	.end_amdgpu_metadata
